;; amdgpu-corpus repo=ROCm/rocm-examples kind=compiled arch=gfx1201 opt=O3
	.amdgcn_target "amdgcn-amd-amdhsa--gfx1201"
	.amdhsa_code_object_version 6
	.section	.text._Z14transposeNaiveIiEvPT_PKS0_m,"axG",@progbits,_Z14transposeNaiveIiEvPT_PKS0_m,comdat
	.protected	_Z14transposeNaiveIiEvPT_PKS0_m ; -- Begin function _Z14transposeNaiveIiEvPT_PKS0_m
	.globl	_Z14transposeNaiveIiEvPT_PKS0_m
	.p2align	8
	.type	_Z14transposeNaiveIiEvPT_PKS0_m,@function
_Z14transposeNaiveIiEvPT_PKS0_m:        ; @_Z14transposeNaiveIiEvPT_PKS0_m
; %bb.0:
	v_bfe_u32 v1, v0, 10, 10
	s_mov_b32 s2, exec_lo
	s_delay_alu instid0(VALU_DEP_1)
	v_cmpx_gt_u32_e32 64, v1
	s_cbranch_execz .LBB0_3
; %bb.1:
	s_load_b64 s[6:7], s[0:1], 0x10
	v_and_b32_e32 v0, 0x3ff, v0
	s_lshl_b32 s4, ttmp7, 6
	s_delay_alu instid0(SALU_CYCLE_1) | instskip(NEXT) | instid1(VALU_DEP_2)
	v_add_co_u32 v2, s5, v1, s4
	v_lshl_add_u32 v3, ttmp9, 6, v0
	s_wait_alu 0xf1ff
	v_add_co_ci_u32_e64 v0, null, 0, 0, s5
	s_mov_b32 s5, 0
	s_wait_alu 0xfffe
	s_lshl_b64 s[8:9], s[4:5], 2
	s_wait_kmcnt 0x0
	v_mad_co_u64_u32 v[5:6], null, s6, v3, 0
	v_mul_lo_u32 v13, s6, v0
	v_mul_lo_u32 v12, s7, v2
	v_mad_co_u64_u32 v[7:8], null, s6, v2, 0
	s_delay_alu instid0(VALU_DEP_4) | instskip(NEXT) | instid1(VALU_DEP_2)
	v_mov_b32_e32 v0, v6
	v_add3_u32 v8, v8, v13, v12
	s_delay_alu instid0(VALU_DEP_2) | instskip(SKIP_1) | instid1(VALU_DEP_3)
	v_mad_co_u64_u32 v[9:10], null, s7, v3, v[0:1]
	v_lshlrev_b32_e32 v10, 2, v1
	v_lshlrev_b64_e32 v[7:8], 2, v[7:8]
	s_delay_alu instid0(VALU_DEP_3) | instskip(SKIP_2) | instid1(VALU_DEP_3)
	v_mov_b32_e32 v6, v9
	v_mul_lo_u32 v9, 0, s6
	v_mov_b32_e32 v4, 0
	v_lshlrev_b64_e32 v[5:6], 2, v[5:6]
	global_load_u16 v11, v4, s[0:1] offset:38
	s_load_b128 s[0:3], s[0:1], 0x0
	s_wait_kmcnt 0x0
	s_add_nc_u64 s[0:1], s[0:1], s[8:9]
	s_wait_loadcnt 0x0
	v_and_b32_e32 v0, 0xffff, v11
	v_mov_b32_e32 v2, v4
	v_lshlrev_b64_e32 v[3:4], 2, v[3:4]
	s_delay_alu instid0(VALU_DEP_3) | instskip(SKIP_1) | instid1(VALU_DEP_3)
	v_mul_lo_u32 v11, v0, s7
	v_mul_hi_u32 v12, v0, s6
	v_add_co_u32 v13, vcc_lo, v7, v3
	v_mul_lo_u32 v7, v0, s6
	v_add_co_ci_u32_e64 v14, null, v8, v4, vcc_lo
	v_add_nc_u32_e32 v3, v11, v9
	v_add_co_u32 v4, vcc_lo, v5, v10
	s_wait_alu 0xfffd
	v_add_co_ci_u32_e64 v5, null, 0, v6, vcc_lo
	s_delay_alu instid0(VALU_DEP_3)
	v_add_nc_u32_e32 v8, v3, v12
	s_wait_alu 0xfffe
	v_add_co_u32 v3, vcc_lo, s0, v4
	s_wait_alu 0xfffd
	v_add_co_ci_u32_e64 v4, null, s1, v5, vcc_lo
	v_lshlrev_b64_e32 v[5:6], 2, v[7:8]
	v_add_co_u32 v7, vcc_lo, s2, v13
	v_lshlrev_b32_e32 v9, 2, v0
	s_wait_alu 0xfffd
	v_add_co_ci_u32_e64 v8, null, s3, v14, vcc_lo
.LBB0_2:                                ; =>This Inner Loop Header: Depth=1
	global_load_b32 v10, v[7:8], off
	v_add_co_u32 v1, vcc_lo, v1, v0
	s_wait_alu 0xfffd
	v_add_co_ci_u32_e64 v2, null, 0, v2, vcc_lo
	v_add_co_u32 v7, vcc_lo, v7, v5
	s_wait_alu 0xfffd
	v_add_co_ci_u32_e64 v8, null, v8, v6, vcc_lo
	s_delay_alu instid0(VALU_DEP_3)
	v_cmp_lt_u64_e32 vcc_lo, 63, v[1:2]
	s_or_b32 s5, vcc_lo, s5
	s_wait_loadcnt 0x0
	global_store_b32 v[3:4], v10, off
	v_add_co_u32 v3, s0, v3, v9
	s_wait_alu 0xf1ff
	v_add_co_ci_u32_e64 v4, null, 0, v4, s0
	s_wait_alu 0xfffe
	s_and_not1_b32 exec_lo, exec_lo, s5
	s_cbranch_execnz .LBB0_2
.LBB0_3:
	s_endpgm
	.section	.rodata,"a",@progbits
	.p2align	6, 0x0
	.amdhsa_kernel _Z14transposeNaiveIiEvPT_PKS0_m
		.amdhsa_group_segment_fixed_size 0
		.amdhsa_private_segment_fixed_size 0
		.amdhsa_kernarg_size 280
		.amdhsa_user_sgpr_count 2
		.amdhsa_user_sgpr_dispatch_ptr 0
		.amdhsa_user_sgpr_queue_ptr 0
		.amdhsa_user_sgpr_kernarg_segment_ptr 1
		.amdhsa_user_sgpr_dispatch_id 0
		.amdhsa_user_sgpr_private_segment_size 0
		.amdhsa_wavefront_size32 1
		.amdhsa_uses_dynamic_stack 0
		.amdhsa_enable_private_segment 0
		.amdhsa_system_sgpr_workgroup_id_x 1
		.amdhsa_system_sgpr_workgroup_id_y 1
		.amdhsa_system_sgpr_workgroup_id_z 0
		.amdhsa_system_sgpr_workgroup_info 0
		.amdhsa_system_vgpr_workitem_id 1
		.amdhsa_next_free_vgpr 15
		.amdhsa_next_free_sgpr 10
		.amdhsa_reserve_vcc 1
		.amdhsa_float_round_mode_32 0
		.amdhsa_float_round_mode_16_64 0
		.amdhsa_float_denorm_mode_32 3
		.amdhsa_float_denorm_mode_16_64 3
		.amdhsa_fp16_overflow 0
		.amdhsa_workgroup_processor_mode 1
		.amdhsa_memory_ordered 1
		.amdhsa_forward_progress 1
		.amdhsa_inst_pref_size 4
		.amdhsa_round_robin_scheduling 0
		.amdhsa_exception_fp_ieee_invalid_op 0
		.amdhsa_exception_fp_denorm_src 0
		.amdhsa_exception_fp_ieee_div_zero 0
		.amdhsa_exception_fp_ieee_overflow 0
		.amdhsa_exception_fp_ieee_underflow 0
		.amdhsa_exception_fp_ieee_inexact 0
		.amdhsa_exception_int_div_zero 0
	.end_amdhsa_kernel
	.section	.text._Z14transposeNaiveIiEvPT_PKS0_m,"axG",@progbits,_Z14transposeNaiveIiEvPT_PKS0_m,comdat
.Lfunc_end0:
	.size	_Z14transposeNaiveIiEvPT_PKS0_m, .Lfunc_end0-_Z14transposeNaiveIiEvPT_PKS0_m
                                        ; -- End function
	.set _Z14transposeNaiveIiEvPT_PKS0_m.num_vgpr, 15
	.set _Z14transposeNaiveIiEvPT_PKS0_m.num_agpr, 0
	.set _Z14transposeNaiveIiEvPT_PKS0_m.numbered_sgpr, 10
	.set _Z14transposeNaiveIiEvPT_PKS0_m.num_named_barrier, 0
	.set _Z14transposeNaiveIiEvPT_PKS0_m.private_seg_size, 0
	.set _Z14transposeNaiveIiEvPT_PKS0_m.uses_vcc, 1
	.set _Z14transposeNaiveIiEvPT_PKS0_m.uses_flat_scratch, 0
	.set _Z14transposeNaiveIiEvPT_PKS0_m.has_dyn_sized_stack, 0
	.set _Z14transposeNaiveIiEvPT_PKS0_m.has_recursion, 0
	.set _Z14transposeNaiveIiEvPT_PKS0_m.has_indirect_call, 0
	.section	.AMDGPU.csdata,"",@progbits
; Kernel info:
; codeLenInByte = 476
; TotalNumSgprs: 12
; NumVgprs: 15
; ScratchSize: 0
; MemoryBound: 0
; FloatMode: 240
; IeeeMode: 1
; LDSByteSize: 0 bytes/workgroup (compile time only)
; SGPRBlocks: 0
; VGPRBlocks: 1
; NumSGPRsForWavesPerEU: 12
; NumVGPRsForWavesPerEU: 15
; Occupancy: 16
; WaveLimiterHint : 0
; COMPUTE_PGM_RSRC2:SCRATCH_EN: 0
; COMPUTE_PGM_RSRC2:USER_SGPR: 2
; COMPUTE_PGM_RSRC2:TRAP_HANDLER: 0
; COMPUTE_PGM_RSRC2:TGID_X_EN: 1
; COMPUTE_PGM_RSRC2:TGID_Y_EN: 1
; COMPUTE_PGM_RSRC2:TGID_Z_EN: 0
; COMPUTE_PGM_RSRC2:TIDIG_COMP_CNT: 1
	.section	.text._Z27transposeLdsNoBankConflictsIiEvPT_PKS0_m,"axG",@progbits,_Z27transposeLdsNoBankConflictsIiEvPT_PKS0_m,comdat
	.protected	_Z27transposeLdsNoBankConflictsIiEvPT_PKS0_m ; -- Begin function _Z27transposeLdsNoBankConflictsIiEvPT_PKS0_m
	.globl	_Z27transposeLdsNoBankConflictsIiEvPT_PKS0_m
	.p2align	8
	.type	_Z27transposeLdsNoBankConflictsIiEvPT_PKS0_m,@function
_Z27transposeLdsNoBankConflictsIiEvPT_PKS0_m: ; @_Z27transposeLdsNoBankConflictsIiEvPT_PKS0_m
; %bb.0:
	v_bfe_u32 v2, v0, 10, 10
	s_lshl_b32 s10, ttmp7, 6
	v_mov_b32_e32 v1, 0
	s_load_b64 s[6:7], s[0:1], 0x10
	s_lshl_b32 s11, ttmp9, 6
	v_add_nc_u32_e32 v6, s10, v2
	s_mov_b32 s5, 0
	global_load_u16 v7, v1, s[0:1] offset:38
	s_load_b128 s[0:3], s[0:1], 0x0
	s_mov_b64 s[8:9], 0
	s_wait_kmcnt 0x0
	v_mad_co_u64_u32 v[4:5], null, s6, v6, 0
	s_delay_alu instid0(VALU_DEP_1) | instskip(NEXT) | instid1(VALU_DEP_1)
	v_mov_b32_e32 v3, v5
	v_mad_co_u64_u32 v[5:6], null, s7, v6, v[3:4]
	v_and_b32_e32 v3, 0x3ff, v0
	s_delay_alu instid0(VALU_DEP_1) | instskip(NEXT) | instid1(VALU_DEP_3)
	v_add_nc_u32_e32 v0, s11, v3
	v_lshlrev_b64_e32 v[4:5], 2, v[4:5]
	v_lshlrev_b32_e32 v6, 2, v3
	s_delay_alu instid0(VALU_DEP_3) | instskip(NEXT) | instid1(VALU_DEP_3)
	v_lshlrev_b64_e32 v[0:1], 2, v[0:1]
	v_add_co_u32 v8, vcc_lo, s2, v4
	s_delay_alu instid0(VALU_DEP_1) | instskip(NEXT) | instid1(VALU_DEP_4)
	v_add_co_ci_u32_e64 v5, null, s3, v5, vcc_lo
	v_mad_u32_u24 v6, 0x104, v2, v6
	s_delay_alu instid0(VALU_DEP_3) | instskip(SKIP_1) | instid1(VALU_DEP_3)
	v_add_co_u32 v0, vcc_lo, v8, v0
	s_wait_alu 0xfffd
	v_add_co_ci_u32_e64 v1, null, v5, v1, vcc_lo
	s_wait_loadcnt 0x0
	v_and_b32_e32 v4, 0xffff, v7
	v_readfirstlane_b32 s2, v7
	s_delay_alu instid0(VALU_DEP_2) | instskip(SKIP_1) | instid1(SALU_CYCLE_1)
	v_mul_lo_u32 v5, 0x104, v4
	s_and_b32 s4, s2, 0xffff
	s_mul_u64 s[2:3], s[6:7], s[4:5]
	s_wait_alu 0xfffe
	s_lshl_b64 s[2:3], s[2:3], 2
.LBB1_1:                                ; =>This Inner Loop Header: Depth=1
	global_load_b32 v7, v[0:1], off
	s_add_nc_u64 s[8:9], s[8:9], s[4:5]
	s_wait_alu 0xfffe
	v_add_co_u32 v0, vcc_lo, v0, s2
	v_cmp_gt_u64_e64 s12, s[8:9], 63
	s_wait_alu 0xfffd
	v_add_co_ci_u32_e64 v1, null, s3, v1, vcc_lo
	s_and_b32 vcc_lo, exec_lo, s12
	s_wait_loadcnt 0x0
	ds_store_b32 v6, v7
	v_add_nc_u32_e32 v6, v6, v5
	s_wait_alu 0xfffe
	s_cbranch_vccz .LBB1_1
; %bb.2:
	v_add_nc_u32_e32 v5, s11, v2
	s_wait_dscnt 0x0
	s_barrier_signal -1
	s_barrier_wait -1
	global_inv scope:SCOPE_SE
	v_mad_co_u64_u32 v[0:1], null, s6, v5, 0
	s_delay_alu instid0(VALU_DEP_1) | instskip(SKIP_2) | instid1(VALU_DEP_2)
	v_mad_co_u64_u32 v[5:6], null, s7, v5, v[1:2]
	v_mov_b32_e32 v6, 0
	s_mov_b64 s[6:7], 0
	v_dual_mov_b32 v1, v5 :: v_dual_lshlrev_b32 v2, 2, v2
	v_add_nc_u32_e32 v5, s10, v3
	s_delay_alu instid0(VALU_DEP_2) | instskip(SKIP_1) | instid1(VALU_DEP_4)
	v_mad_u32_u24 v2, 0x104, v3, v2
	v_lshlrev_b32_e32 v3, 2, v4
	v_lshlrev_b64_e32 v[0:1], 2, v[0:1]
	s_delay_alu instid0(VALU_DEP_4) | instskip(NEXT) | instid1(VALU_DEP_2)
	v_lshlrev_b64_e32 v[5:6], 2, v[5:6]
	v_add_co_u32 v0, vcc_lo, s0, v0
	s_wait_alu 0xfffd
	s_delay_alu instid0(VALU_DEP_3) | instskip(NEXT) | instid1(VALU_DEP_2)
	v_add_co_ci_u32_e64 v1, null, s1, v1, vcc_lo
	v_add_co_u32 v0, vcc_lo, v0, v5
	s_wait_alu 0xfffd
	s_delay_alu instid0(VALU_DEP_2)
	v_add_co_ci_u32_e64 v1, null, v1, v6, vcc_lo
.LBB1_3:                                ; =>This Inner Loop Header: Depth=1
	ds_load_b32 v4, v2
	s_wait_alu 0xfffe
	s_add_nc_u64 s[6:7], s[6:7], s[4:5]
	v_add_nc_u32_e32 v2, v2, v3
	s_wait_alu 0xfffe
	v_cmp_gt_u64_e64 s0, s[6:7], 63
	s_and_b32 vcc_lo, exec_lo, s0
	s_wait_dscnt 0x0
	global_store_b32 v[0:1], v4, off
	v_add_co_u32 v0, s0, v0, s2
	s_wait_alu 0xf1ff
	v_add_co_ci_u32_e64 v1, null, s3, v1, s0
	s_wait_alu 0xfffe
	s_cbranch_vccz .LBB1_3
; %bb.4:
	s_endpgm
	.section	.rodata,"a",@progbits
	.p2align	6, 0x0
	.amdhsa_kernel _Z27transposeLdsNoBankConflictsIiEvPT_PKS0_m
		.amdhsa_group_segment_fixed_size 16640
		.amdhsa_private_segment_fixed_size 0
		.amdhsa_kernarg_size 280
		.amdhsa_user_sgpr_count 2
		.amdhsa_user_sgpr_dispatch_ptr 0
		.amdhsa_user_sgpr_queue_ptr 0
		.amdhsa_user_sgpr_kernarg_segment_ptr 1
		.amdhsa_user_sgpr_dispatch_id 0
		.amdhsa_user_sgpr_private_segment_size 0
		.amdhsa_wavefront_size32 1
		.amdhsa_uses_dynamic_stack 0
		.amdhsa_enable_private_segment 0
		.amdhsa_system_sgpr_workgroup_id_x 1
		.amdhsa_system_sgpr_workgroup_id_y 1
		.amdhsa_system_sgpr_workgroup_id_z 0
		.amdhsa_system_sgpr_workgroup_info 0
		.amdhsa_system_vgpr_workitem_id 1
		.amdhsa_next_free_vgpr 9
		.amdhsa_next_free_sgpr 13
		.amdhsa_reserve_vcc 1
		.amdhsa_float_round_mode_32 0
		.amdhsa_float_round_mode_16_64 0
		.amdhsa_float_denorm_mode_32 3
		.amdhsa_float_denorm_mode_16_64 3
		.amdhsa_fp16_overflow 0
		.amdhsa_workgroup_processor_mode 1
		.amdhsa_memory_ordered 1
		.amdhsa_forward_progress 1
		.amdhsa_inst_pref_size 5
		.amdhsa_round_robin_scheduling 0
		.amdhsa_exception_fp_ieee_invalid_op 0
		.amdhsa_exception_fp_denorm_src 0
		.amdhsa_exception_fp_ieee_div_zero 0
		.amdhsa_exception_fp_ieee_overflow 0
		.amdhsa_exception_fp_ieee_underflow 0
		.amdhsa_exception_fp_ieee_inexact 0
		.amdhsa_exception_int_div_zero 0
	.end_amdhsa_kernel
	.section	.text._Z27transposeLdsNoBankConflictsIiEvPT_PKS0_m,"axG",@progbits,_Z27transposeLdsNoBankConflictsIiEvPT_PKS0_m,comdat
.Lfunc_end1:
	.size	_Z27transposeLdsNoBankConflictsIiEvPT_PKS0_m, .Lfunc_end1-_Z27transposeLdsNoBankConflictsIiEvPT_PKS0_m
                                        ; -- End function
	.set _Z27transposeLdsNoBankConflictsIiEvPT_PKS0_m.num_vgpr, 9
	.set _Z27transposeLdsNoBankConflictsIiEvPT_PKS0_m.num_agpr, 0
	.set _Z27transposeLdsNoBankConflictsIiEvPT_PKS0_m.numbered_sgpr, 13
	.set _Z27transposeLdsNoBankConflictsIiEvPT_PKS0_m.num_named_barrier, 0
	.set _Z27transposeLdsNoBankConflictsIiEvPT_PKS0_m.private_seg_size, 0
	.set _Z27transposeLdsNoBankConflictsIiEvPT_PKS0_m.uses_vcc, 1
	.set _Z27transposeLdsNoBankConflictsIiEvPT_PKS0_m.uses_flat_scratch, 0
	.set _Z27transposeLdsNoBankConflictsIiEvPT_PKS0_m.has_dyn_sized_stack, 0
	.set _Z27transposeLdsNoBankConflictsIiEvPT_PKS0_m.has_recursion, 0
	.set _Z27transposeLdsNoBankConflictsIiEvPT_PKS0_m.has_indirect_call, 0
	.section	.AMDGPU.csdata,"",@progbits
; Kernel info:
; codeLenInByte = 536
; TotalNumSgprs: 15
; NumVgprs: 9
; ScratchSize: 0
; MemoryBound: 0
; FloatMode: 240
; IeeeMode: 1
; LDSByteSize: 16640 bytes/workgroup (compile time only)
; SGPRBlocks: 0
; VGPRBlocks: 1
; NumSGPRsForWavesPerEU: 15
; NumVGPRsForWavesPerEU: 9
; Occupancy: 16
; WaveLimiterHint : 0
; COMPUTE_PGM_RSRC2:SCRATCH_EN: 0
; COMPUTE_PGM_RSRC2:USER_SGPR: 2
; COMPUTE_PGM_RSRC2:TRAP_HANDLER: 0
; COMPUTE_PGM_RSRC2:TGID_X_EN: 1
; COMPUTE_PGM_RSRC2:TGID_Y_EN: 1
; COMPUTE_PGM_RSRC2:TGID_Z_EN: 0
; COMPUTE_PGM_RSRC2:TIDIG_COMP_CNT: 1
	.section	.text._Z23transposeLdsSwapInplaceIiEvPT_PKS0_m,"axG",@progbits,_Z23transposeLdsSwapInplaceIiEvPT_PKS0_m,comdat
	.protected	_Z23transposeLdsSwapInplaceIiEvPT_PKS0_m ; -- Begin function _Z23transposeLdsSwapInplaceIiEvPT_PKS0_m
	.globl	_Z23transposeLdsSwapInplaceIiEvPT_PKS0_m
	.p2align	8
	.type	_Z23transposeLdsSwapInplaceIiEvPT_PKS0_m,@function
_Z23transposeLdsSwapInplaceIiEvPT_PKS0_m: ; @_Z23transposeLdsSwapInplaceIiEvPT_PKS0_m
; %bb.0:
	s_clause 0x1
	s_load_b64 s[8:9], s[0:1], 0x10
	s_load_b128 s[4:7], s[0:1], 0x0
	v_bfe_u32 v1, v0, 10, 10
	v_dual_mov_b32 v2, 0 :: v_dual_and_b32 v3, 0x3ff, v0
	s_lshl_b32 s10, ttmp9, 6
	s_delay_alu instid0(VALU_DEP_2) | instskip(NEXT) | instid1(VALU_DEP_2)
	v_cmp_gt_u32_e32 vcc_lo, 64, v1
	v_lshlrev_b32_e32 v0, 2, v3
	s_wait_kmcnt 0x0
	v_mul_lo_u32 v10, 0, s8
	s_and_saveexec_b32 s11, vcc_lo
	s_cbranch_execz .LBB2_3
; %bb.1:
	global_load_u16 v6, v2, s[0:1] offset:38
	s_lshl_b32 s2, ttmp7, 6
	v_lshl_add_u32 v12, v1, 8, v0
	v_add_co_u32 v4, s2, v1, s2
	s_wait_alu 0xf1ff
	v_add_co_ci_u32_e64 v5, null, 0, 0, s2
	s_delay_alu instid0(VALU_DEP_2) | instskip(NEXT) | instid1(VALU_DEP_2)
	v_mul_lo_u32 v7, s9, v4
	v_mul_lo_u32 v8, s8, v5
	v_mad_co_u64_u32 v[4:5], null, s8, v4, 0
	s_delay_alu instid0(VALU_DEP_1) | instskip(SKIP_1) | instid1(VALU_DEP_2)
	v_add3_u32 v5, v5, v8, v7
	v_mov_b32_e32 v7, v2
	v_lshlrev_b64_e32 v[4:5], 2, v[4:5]
	s_wait_loadcnt 0x0
	v_and_b32_e32 v11, 0xffff, v6
	v_add_nc_u32_e32 v6, s10, v3
	s_delay_alu instid0(VALU_DEP_2) | instskip(SKIP_1) | instid1(VALU_DEP_3)
	v_mul_lo_u32 v9, v11, s9
	v_mul_hi_u32 v14, v11, s8
	v_lshlrev_b64_e32 v[6:7], 2, v[6:7]
	v_mul_lo_u32 v8, v11, s8
	s_delay_alu instid0(VALU_DEP_2) | instskip(SKIP_2) | instid1(VALU_DEP_4)
	v_add_co_u32 v4, s2, v4, v6
	v_add_nc_u32_e32 v9, v9, v10
	s_wait_alu 0xf1ff
	v_add_co_ci_u32_e64 v5, null, v5, v7, s2
	s_delay_alu instid0(VALU_DEP_3) | instskip(NEXT) | instid1(VALU_DEP_3)
	v_add_co_u32 v4, s2, s6, v4
	v_add_nc_u32_e32 v9, v9, v14
	s_wait_alu 0xf1ff
	s_delay_alu instid0(VALU_DEP_3)
	v_add_co_ci_u32_e64 v5, null, s7, v5, s2
	s_mov_b32 s6, 0
	v_lshlrev_b64_e32 v[6:7], 2, v[8:9]
	v_dual_mov_b32 v9, v2 :: v_dual_mov_b32 v8, v1
	v_lshlrev_b32_e32 v13, 8, v11
.LBB2_2:                                ; =>This Inner Loop Header: Depth=1
	global_load_b32 v14, v[4:5], off
	v_add_co_u32 v8, s2, v8, v11
	s_wait_alu 0xf1ff
	v_add_co_ci_u32_e64 v9, null, 0, v9, s2
	v_add_co_u32 v4, s2, v4, v6
	s_wait_alu 0xf1ff
	v_add_co_ci_u32_e64 v5, null, v5, v7, s2
	s_delay_alu instid0(VALU_DEP_3)
	v_cmp_lt_u64_e64 s3, 63, v[8:9]
	s_wait_alu 0xfffe
	s_or_b32 s6, s3, s6
	s_wait_loadcnt 0x0
	ds_store_b32 v12, v14
	v_add_nc_u32_e32 v12, v12, v13
	s_wait_alu 0xfffe
	s_and_not1_b32 exec_lo, exec_lo, s6
	s_cbranch_execnz .LBB2_2
.LBB2_3:
	s_or_b32 exec_lo, exec_lo, s11
	s_wait_dscnt 0x0
	s_barrier_signal -1
	s_barrier_wait -1
	global_inv scope:SCOPE_SE
	s_and_saveexec_b32 s3, vcc_lo
	s_cbranch_execz .LBB2_8
; %bb.4:
	v_dual_mov_b32 v4, 0 :: v_dual_lshlrev_b32 v9, 2, v1
	v_mul_u32_u24_e32 v6, 0xfc, v3
	v_lshl_add_u32 v8, v1, 8, v0
	s_mov_b32 s6, 0
	global_load_u16 v5, v4, s[0:1] offset:38
	v_add3_u32 v9, v6, v0, v9
	s_wait_loadcnt 0x0
	v_dual_mov_b32 v6, v2 :: v_dual_and_b32 v7, 0xffff, v5
	s_delay_alu instid0(VALU_DEP_1)
	v_dual_mov_b32 v5, v1 :: v_dual_lshlrev_b32 v12, 2, v7
	v_lshlrev_b32_e32 v11, 8, v7
	s_branch .LBB2_6
.LBB2_5:                                ;   in Loop: Header=BB2_6 Depth=1
	s_wait_alu 0xfffe
	s_or_b32 exec_lo, exec_lo, s7
	v_add_co_u32 v5, s2, v5, v7
	s_wait_alu 0xf1ff
	v_add_co_ci_u32_e64 v6, null, 0, v6, s2
	v_add_nc_u32_e32 v8, v8, v11
	v_add_nc_u32_e32 v9, v9, v12
	s_delay_alu instid0(VALU_DEP_3)
	v_cmp_lt_u64_e64 s2, 63, v[5:6]
	s_or_b32 s6, s2, s6
	s_wait_alu 0xfffe
	s_and_not1_b32 exec_lo, exec_lo, s6
	s_cbranch_execz .LBB2_8
.LBB2_6:                                ; =>This Inner Loop Header: Depth=1
	s_mov_b32 s7, exec_lo
	s_delay_alu instid0(VALU_DEP_2)
	v_cmpx_lt_u64_e64 v[5:6], v[3:4]
	s_cbranch_execz .LBB2_5
; %bb.7:                                ;   in Loop: Header=BB2_6 Depth=1
	ds_load_b32 v13, v9
	ds_load_b32 v14, v8
	s_wait_dscnt 0x1
	ds_store_b32 v8, v13
	s_wait_dscnt 0x1
	ds_store_b32 v9, v14
	s_branch .LBB2_5
.LBB2_8:
	s_wait_alu 0xfffe
	s_or_b32 exec_lo, exec_lo, s3
	s_wait_loadcnt_dscnt 0x0
	s_barrier_signal -1
	s_barrier_wait -1
	global_inv scope:SCOPE_SE
	s_and_saveexec_b32 s2, vcc_lo
	s_cbranch_execz .LBB2_11
; %bb.9:
	v_mov_b32_e32 v4, 0
	v_lshl_add_u32 v3, ttmp7, 6, v3
	v_lshl_add_u32 v0, v1, 8, v0
	global_load_u16 v5, v4, s[0:1] offset:38
	v_add_co_u32 v6, s0, v1, s10
	s_wait_alu 0xf1ff
	v_add_co_ci_u32_e64 v7, null, 0, 0, s0
	s_mov_b32 s1, 0
	v_mul_lo_u32 v8, s9, v6
	v_mul_lo_u32 v9, s8, v7
	s_wait_loadcnt 0x0
	v_and_b32_e32 v7, 0xffff, v5
	v_mad_co_u64_u32 v[5:6], null, s8, v6, 0
	v_lshlrev_b64_e32 v[3:4], 2, v[3:4]
	s_delay_alu instid0(VALU_DEP_3) | instskip(NEXT) | instid1(VALU_DEP_3)
	v_mul_lo_u32 v11, v7, s9
	v_add3_u32 v6, v6, v9, v8
	v_mul_hi_u32 v8, v7, s8
	v_mul_lo_u32 v9, v7, s8
	s_delay_alu instid0(VALU_DEP_4) | instskip(NEXT) | instid1(VALU_DEP_4)
	v_add_nc_u32_e32 v10, v11, v10
	v_lshlrev_b64_e32 v[5:6], 2, v[5:6]
	s_delay_alu instid0(VALU_DEP_2) | instskip(SKIP_1) | instid1(VALU_DEP_3)
	v_add_nc_u32_e32 v10, v10, v8
	v_lshlrev_b32_e32 v8, 8, v7
	v_add_co_u32 v5, vcc_lo, v5, v3
	s_delay_alu instid0(VALU_DEP_1) | instskip(NEXT) | instid1(VALU_DEP_4)
	v_add_co_ci_u32_e64 v6, null, v6, v4, vcc_lo
	v_lshlrev_b64_e32 v[3:4], 2, v[9:10]
	s_delay_alu instid0(VALU_DEP_3) | instskip(SKIP_1) | instid1(VALU_DEP_3)
	v_add_co_u32 v5, vcc_lo, s4, v5
	s_wait_alu 0xfffd
	v_add_co_ci_u32_e64 v6, null, s5, v6, vcc_lo
.LBB2_10:                               ; =>This Inner Loop Header: Depth=1
	ds_load_b32 v9, v0
	v_add_co_u32 v1, vcc_lo, v1, v7
	s_wait_alu 0xfffd
	v_add_co_ci_u32_e64 v2, null, 0, v2, vcc_lo
	v_add_nc_u32_e32 v0, v0, v8
	s_delay_alu instid0(VALU_DEP_2)
	v_cmp_lt_u64_e32 vcc_lo, 63, v[1:2]
	s_wait_alu 0xfffe
	s_or_b32 s1, vcc_lo, s1
	s_wait_dscnt 0x0
	global_store_b32 v[5:6], v9, off
	v_add_co_u32 v5, s0, v5, v3
	s_wait_alu 0xf1ff
	v_add_co_ci_u32_e64 v6, null, v6, v4, s0
	s_wait_alu 0xfffe
	s_and_not1_b32 exec_lo, exec_lo, s1
	s_cbranch_execnz .LBB2_10
.LBB2_11:
	s_endpgm
	.section	.rodata,"a",@progbits
	.p2align	6, 0x0
	.amdhsa_kernel _Z23transposeLdsSwapInplaceIiEvPT_PKS0_m
		.amdhsa_group_segment_fixed_size 16384
		.amdhsa_private_segment_fixed_size 0
		.amdhsa_kernarg_size 280
		.amdhsa_user_sgpr_count 2
		.amdhsa_user_sgpr_dispatch_ptr 0
		.amdhsa_user_sgpr_queue_ptr 0
		.amdhsa_user_sgpr_kernarg_segment_ptr 1
		.amdhsa_user_sgpr_dispatch_id 0
		.amdhsa_user_sgpr_private_segment_size 0
		.amdhsa_wavefront_size32 1
		.amdhsa_uses_dynamic_stack 0
		.amdhsa_enable_private_segment 0
		.amdhsa_system_sgpr_workgroup_id_x 1
		.amdhsa_system_sgpr_workgroup_id_y 1
		.amdhsa_system_sgpr_workgroup_id_z 0
		.amdhsa_system_sgpr_workgroup_info 0
		.amdhsa_system_vgpr_workitem_id 1
		.amdhsa_next_free_vgpr 15
		.amdhsa_next_free_sgpr 12
		.amdhsa_reserve_vcc 1
		.amdhsa_float_round_mode_32 0
		.amdhsa_float_round_mode_16_64 0
		.amdhsa_float_denorm_mode_32 3
		.amdhsa_float_denorm_mode_16_64 3
		.amdhsa_fp16_overflow 0
		.amdhsa_workgroup_processor_mode 1
		.amdhsa_memory_ordered 1
		.amdhsa_forward_progress 1
		.amdhsa_inst_pref_size 8
		.amdhsa_round_robin_scheduling 0
		.amdhsa_exception_fp_ieee_invalid_op 0
		.amdhsa_exception_fp_denorm_src 0
		.amdhsa_exception_fp_ieee_div_zero 0
		.amdhsa_exception_fp_ieee_overflow 0
		.amdhsa_exception_fp_ieee_underflow 0
		.amdhsa_exception_fp_ieee_inexact 0
		.amdhsa_exception_int_div_zero 0
	.end_amdhsa_kernel
	.section	.text._Z23transposeLdsSwapInplaceIiEvPT_PKS0_m,"axG",@progbits,_Z23transposeLdsSwapInplaceIiEvPT_PKS0_m,comdat
.Lfunc_end2:
	.size	_Z23transposeLdsSwapInplaceIiEvPT_PKS0_m, .Lfunc_end2-_Z23transposeLdsSwapInplaceIiEvPT_PKS0_m
                                        ; -- End function
	.set _Z23transposeLdsSwapInplaceIiEvPT_PKS0_m.num_vgpr, 15
	.set _Z23transposeLdsSwapInplaceIiEvPT_PKS0_m.num_agpr, 0
	.set _Z23transposeLdsSwapInplaceIiEvPT_PKS0_m.numbered_sgpr, 12
	.set _Z23transposeLdsSwapInplaceIiEvPT_PKS0_m.num_named_barrier, 0
	.set _Z23transposeLdsSwapInplaceIiEvPT_PKS0_m.private_seg_size, 0
	.set _Z23transposeLdsSwapInplaceIiEvPT_PKS0_m.uses_vcc, 1
	.set _Z23transposeLdsSwapInplaceIiEvPT_PKS0_m.uses_flat_scratch, 0
	.set _Z23transposeLdsSwapInplaceIiEvPT_PKS0_m.has_dyn_sized_stack, 0
	.set _Z23transposeLdsSwapInplaceIiEvPT_PKS0_m.has_recursion, 0
	.set _Z23transposeLdsSwapInplaceIiEvPT_PKS0_m.has_indirect_call, 0
	.section	.AMDGPU.csdata,"",@progbits
; Kernel info:
; codeLenInByte = 988
; TotalNumSgprs: 14
; NumVgprs: 15
; ScratchSize: 0
; MemoryBound: 0
; FloatMode: 240
; IeeeMode: 1
; LDSByteSize: 16384 bytes/workgroup (compile time only)
; SGPRBlocks: 0
; VGPRBlocks: 1
; NumSGPRsForWavesPerEU: 14
; NumVGPRsForWavesPerEU: 15
; Occupancy: 16
; WaveLimiterHint : 0
; COMPUTE_PGM_RSRC2:SCRATCH_EN: 0
; COMPUTE_PGM_RSRC2:USER_SGPR: 2
; COMPUTE_PGM_RSRC2:TRAP_HANDLER: 0
; COMPUTE_PGM_RSRC2:TGID_X_EN: 1
; COMPUTE_PGM_RSRC2:TGID_Y_EN: 1
; COMPUTE_PGM_RSRC2:TGID_Z_EN: 0
; COMPUTE_PGM_RSRC2:TIDIG_COMP_CNT: 1
	.section	.text._Z14transposeNaiveIfEvPT_PKS0_m,"axG",@progbits,_Z14transposeNaiveIfEvPT_PKS0_m,comdat
	.protected	_Z14transposeNaiveIfEvPT_PKS0_m ; -- Begin function _Z14transposeNaiveIfEvPT_PKS0_m
	.globl	_Z14transposeNaiveIfEvPT_PKS0_m
	.p2align	8
	.type	_Z14transposeNaiveIfEvPT_PKS0_m,@function
_Z14transposeNaiveIfEvPT_PKS0_m:        ; @_Z14transposeNaiveIfEvPT_PKS0_m
; %bb.0:
	v_bfe_u32 v1, v0, 10, 10
	s_mov_b32 s2, exec_lo
	s_delay_alu instid0(VALU_DEP_1)
	v_cmpx_gt_u32_e32 64, v1
	s_cbranch_execz .LBB3_3
; %bb.1:
	s_load_b64 s[6:7], s[0:1], 0x10
	v_and_b32_e32 v0, 0x3ff, v0
	s_lshl_b32 s4, ttmp7, 6
	s_delay_alu instid0(SALU_CYCLE_1) | instskip(NEXT) | instid1(VALU_DEP_2)
	v_add_co_u32 v2, s5, v1, s4
	v_lshl_add_u32 v3, ttmp9, 6, v0
	s_wait_alu 0xf1ff
	v_add_co_ci_u32_e64 v0, null, 0, 0, s5
	s_mov_b32 s5, 0
	s_wait_alu 0xfffe
	s_lshl_b64 s[8:9], s[4:5], 2
	s_wait_kmcnt 0x0
	v_mad_co_u64_u32 v[5:6], null, s6, v3, 0
	v_mul_lo_u32 v13, s6, v0
	v_mul_lo_u32 v12, s7, v2
	v_mad_co_u64_u32 v[7:8], null, s6, v2, 0
	s_delay_alu instid0(VALU_DEP_4) | instskip(NEXT) | instid1(VALU_DEP_2)
	v_mov_b32_e32 v0, v6
	v_add3_u32 v8, v8, v13, v12
	s_delay_alu instid0(VALU_DEP_2) | instskip(SKIP_1) | instid1(VALU_DEP_3)
	v_mad_co_u64_u32 v[9:10], null, s7, v3, v[0:1]
	v_lshlrev_b32_e32 v10, 2, v1
	v_lshlrev_b64_e32 v[7:8], 2, v[7:8]
	s_delay_alu instid0(VALU_DEP_3) | instskip(SKIP_2) | instid1(VALU_DEP_3)
	v_mov_b32_e32 v6, v9
	v_mul_lo_u32 v9, 0, s6
	v_mov_b32_e32 v4, 0
	v_lshlrev_b64_e32 v[5:6], 2, v[5:6]
	global_load_u16 v11, v4, s[0:1] offset:38
	s_load_b128 s[0:3], s[0:1], 0x0
	s_wait_kmcnt 0x0
	s_add_nc_u64 s[0:1], s[0:1], s[8:9]
	s_wait_loadcnt 0x0
	v_and_b32_e32 v0, 0xffff, v11
	v_mov_b32_e32 v2, v4
	v_lshlrev_b64_e32 v[3:4], 2, v[3:4]
	s_delay_alu instid0(VALU_DEP_3) | instskip(SKIP_1) | instid1(VALU_DEP_3)
	v_mul_lo_u32 v11, v0, s7
	v_mul_hi_u32 v12, v0, s6
	v_add_co_u32 v13, vcc_lo, v7, v3
	v_mul_lo_u32 v7, v0, s6
	v_add_co_ci_u32_e64 v14, null, v8, v4, vcc_lo
	v_add_nc_u32_e32 v3, v11, v9
	v_add_co_u32 v4, vcc_lo, v5, v10
	s_wait_alu 0xfffd
	v_add_co_ci_u32_e64 v5, null, 0, v6, vcc_lo
	s_delay_alu instid0(VALU_DEP_3)
	v_add_nc_u32_e32 v8, v3, v12
	s_wait_alu 0xfffe
	v_add_co_u32 v3, vcc_lo, s0, v4
	s_wait_alu 0xfffd
	v_add_co_ci_u32_e64 v4, null, s1, v5, vcc_lo
	v_lshlrev_b64_e32 v[5:6], 2, v[7:8]
	v_add_co_u32 v7, vcc_lo, s2, v13
	v_lshlrev_b32_e32 v9, 2, v0
	s_wait_alu 0xfffd
	v_add_co_ci_u32_e64 v8, null, s3, v14, vcc_lo
.LBB3_2:                                ; =>This Inner Loop Header: Depth=1
	global_load_b32 v10, v[7:8], off
	v_add_co_u32 v1, vcc_lo, v1, v0
	s_wait_alu 0xfffd
	v_add_co_ci_u32_e64 v2, null, 0, v2, vcc_lo
	v_add_co_u32 v7, vcc_lo, v7, v5
	s_wait_alu 0xfffd
	v_add_co_ci_u32_e64 v8, null, v8, v6, vcc_lo
	s_delay_alu instid0(VALU_DEP_3)
	v_cmp_lt_u64_e32 vcc_lo, 63, v[1:2]
	s_or_b32 s5, vcc_lo, s5
	s_wait_loadcnt 0x0
	global_store_b32 v[3:4], v10, off
	v_add_co_u32 v3, s0, v3, v9
	s_wait_alu 0xf1ff
	v_add_co_ci_u32_e64 v4, null, 0, v4, s0
	s_wait_alu 0xfffe
	s_and_not1_b32 exec_lo, exec_lo, s5
	s_cbranch_execnz .LBB3_2
.LBB3_3:
	s_endpgm
	.section	.rodata,"a",@progbits
	.p2align	6, 0x0
	.amdhsa_kernel _Z14transposeNaiveIfEvPT_PKS0_m
		.amdhsa_group_segment_fixed_size 0
		.amdhsa_private_segment_fixed_size 0
		.amdhsa_kernarg_size 280
		.amdhsa_user_sgpr_count 2
		.amdhsa_user_sgpr_dispatch_ptr 0
		.amdhsa_user_sgpr_queue_ptr 0
		.amdhsa_user_sgpr_kernarg_segment_ptr 1
		.amdhsa_user_sgpr_dispatch_id 0
		.amdhsa_user_sgpr_private_segment_size 0
		.amdhsa_wavefront_size32 1
		.amdhsa_uses_dynamic_stack 0
		.amdhsa_enable_private_segment 0
		.amdhsa_system_sgpr_workgroup_id_x 1
		.amdhsa_system_sgpr_workgroup_id_y 1
		.amdhsa_system_sgpr_workgroup_id_z 0
		.amdhsa_system_sgpr_workgroup_info 0
		.amdhsa_system_vgpr_workitem_id 1
		.amdhsa_next_free_vgpr 15
		.amdhsa_next_free_sgpr 10
		.amdhsa_reserve_vcc 1
		.amdhsa_float_round_mode_32 0
		.amdhsa_float_round_mode_16_64 0
		.amdhsa_float_denorm_mode_32 3
		.amdhsa_float_denorm_mode_16_64 3
		.amdhsa_fp16_overflow 0
		.amdhsa_workgroup_processor_mode 1
		.amdhsa_memory_ordered 1
		.amdhsa_forward_progress 1
		.amdhsa_inst_pref_size 4
		.amdhsa_round_robin_scheduling 0
		.amdhsa_exception_fp_ieee_invalid_op 0
		.amdhsa_exception_fp_denorm_src 0
		.amdhsa_exception_fp_ieee_div_zero 0
		.amdhsa_exception_fp_ieee_overflow 0
		.amdhsa_exception_fp_ieee_underflow 0
		.amdhsa_exception_fp_ieee_inexact 0
		.amdhsa_exception_int_div_zero 0
	.end_amdhsa_kernel
	.section	.text._Z14transposeNaiveIfEvPT_PKS0_m,"axG",@progbits,_Z14transposeNaiveIfEvPT_PKS0_m,comdat
.Lfunc_end3:
	.size	_Z14transposeNaiveIfEvPT_PKS0_m, .Lfunc_end3-_Z14transposeNaiveIfEvPT_PKS0_m
                                        ; -- End function
	.set _Z14transposeNaiveIfEvPT_PKS0_m.num_vgpr, 15
	.set _Z14transposeNaiveIfEvPT_PKS0_m.num_agpr, 0
	.set _Z14transposeNaiveIfEvPT_PKS0_m.numbered_sgpr, 10
	.set _Z14transposeNaiveIfEvPT_PKS0_m.num_named_barrier, 0
	.set _Z14transposeNaiveIfEvPT_PKS0_m.private_seg_size, 0
	.set _Z14transposeNaiveIfEvPT_PKS0_m.uses_vcc, 1
	.set _Z14transposeNaiveIfEvPT_PKS0_m.uses_flat_scratch, 0
	.set _Z14transposeNaiveIfEvPT_PKS0_m.has_dyn_sized_stack, 0
	.set _Z14transposeNaiveIfEvPT_PKS0_m.has_recursion, 0
	.set _Z14transposeNaiveIfEvPT_PKS0_m.has_indirect_call, 0
	.section	.AMDGPU.csdata,"",@progbits
; Kernel info:
; codeLenInByte = 476
; TotalNumSgprs: 12
; NumVgprs: 15
; ScratchSize: 0
; MemoryBound: 0
; FloatMode: 240
; IeeeMode: 1
; LDSByteSize: 0 bytes/workgroup (compile time only)
; SGPRBlocks: 0
; VGPRBlocks: 1
; NumSGPRsForWavesPerEU: 12
; NumVGPRsForWavesPerEU: 15
; Occupancy: 16
; WaveLimiterHint : 0
; COMPUTE_PGM_RSRC2:SCRATCH_EN: 0
; COMPUTE_PGM_RSRC2:USER_SGPR: 2
; COMPUTE_PGM_RSRC2:TRAP_HANDLER: 0
; COMPUTE_PGM_RSRC2:TGID_X_EN: 1
; COMPUTE_PGM_RSRC2:TGID_Y_EN: 1
; COMPUTE_PGM_RSRC2:TGID_Z_EN: 0
; COMPUTE_PGM_RSRC2:TIDIG_COMP_CNT: 1
	.section	.text._Z27transposeLdsNoBankConflictsIfEvPT_PKS0_m,"axG",@progbits,_Z27transposeLdsNoBankConflictsIfEvPT_PKS0_m,comdat
	.protected	_Z27transposeLdsNoBankConflictsIfEvPT_PKS0_m ; -- Begin function _Z27transposeLdsNoBankConflictsIfEvPT_PKS0_m
	.globl	_Z27transposeLdsNoBankConflictsIfEvPT_PKS0_m
	.p2align	8
	.type	_Z27transposeLdsNoBankConflictsIfEvPT_PKS0_m,@function
_Z27transposeLdsNoBankConflictsIfEvPT_PKS0_m: ; @_Z27transposeLdsNoBankConflictsIfEvPT_PKS0_m
; %bb.0:
	v_bfe_u32 v2, v0, 10, 10
	s_lshl_b32 s10, ttmp7, 6
	v_mov_b32_e32 v1, 0
	s_load_b64 s[6:7], s[0:1], 0x10
	s_lshl_b32 s11, ttmp9, 6
	v_add_nc_u32_e32 v6, s10, v2
	s_mov_b32 s5, 0
	global_load_u16 v7, v1, s[0:1] offset:38
	s_load_b128 s[0:3], s[0:1], 0x0
	s_mov_b64 s[8:9], 0
	s_wait_kmcnt 0x0
	v_mad_co_u64_u32 v[4:5], null, s6, v6, 0
	s_delay_alu instid0(VALU_DEP_1) | instskip(NEXT) | instid1(VALU_DEP_1)
	v_mov_b32_e32 v3, v5
	v_mad_co_u64_u32 v[5:6], null, s7, v6, v[3:4]
	v_and_b32_e32 v3, 0x3ff, v0
	s_delay_alu instid0(VALU_DEP_1) | instskip(NEXT) | instid1(VALU_DEP_3)
	v_add_nc_u32_e32 v0, s11, v3
	v_lshlrev_b64_e32 v[4:5], 2, v[4:5]
	v_lshlrev_b32_e32 v6, 2, v3
	s_delay_alu instid0(VALU_DEP_3) | instskip(NEXT) | instid1(VALU_DEP_3)
	v_lshlrev_b64_e32 v[0:1], 2, v[0:1]
	v_add_co_u32 v8, vcc_lo, s2, v4
	s_delay_alu instid0(VALU_DEP_1) | instskip(NEXT) | instid1(VALU_DEP_4)
	v_add_co_ci_u32_e64 v5, null, s3, v5, vcc_lo
	v_mad_u32_u24 v6, 0x104, v2, v6
	s_delay_alu instid0(VALU_DEP_3) | instskip(SKIP_1) | instid1(VALU_DEP_3)
	v_add_co_u32 v0, vcc_lo, v8, v0
	s_wait_alu 0xfffd
	v_add_co_ci_u32_e64 v1, null, v5, v1, vcc_lo
	s_wait_loadcnt 0x0
	v_and_b32_e32 v4, 0xffff, v7
	v_readfirstlane_b32 s2, v7
	s_delay_alu instid0(VALU_DEP_2) | instskip(SKIP_1) | instid1(SALU_CYCLE_1)
	v_mul_lo_u32 v5, 0x104, v4
	s_and_b32 s4, s2, 0xffff
	s_mul_u64 s[2:3], s[6:7], s[4:5]
	s_wait_alu 0xfffe
	s_lshl_b64 s[2:3], s[2:3], 2
.LBB4_1:                                ; =>This Inner Loop Header: Depth=1
	global_load_b32 v7, v[0:1], off
	s_add_nc_u64 s[8:9], s[8:9], s[4:5]
	s_wait_alu 0xfffe
	v_add_co_u32 v0, vcc_lo, v0, s2
	v_cmp_gt_u64_e64 s12, s[8:9], 63
	s_wait_alu 0xfffd
	v_add_co_ci_u32_e64 v1, null, s3, v1, vcc_lo
	s_and_b32 vcc_lo, exec_lo, s12
	s_wait_loadcnt 0x0
	ds_store_b32 v6, v7
	v_add_nc_u32_e32 v6, v6, v5
	s_wait_alu 0xfffe
	s_cbranch_vccz .LBB4_1
; %bb.2:
	v_add_nc_u32_e32 v5, s11, v2
	s_wait_dscnt 0x0
	s_barrier_signal -1
	s_barrier_wait -1
	global_inv scope:SCOPE_SE
	v_mad_co_u64_u32 v[0:1], null, s6, v5, 0
	s_delay_alu instid0(VALU_DEP_1) | instskip(SKIP_2) | instid1(VALU_DEP_2)
	v_mad_co_u64_u32 v[5:6], null, s7, v5, v[1:2]
	v_mov_b32_e32 v6, 0
	s_mov_b64 s[6:7], 0
	v_dual_mov_b32 v1, v5 :: v_dual_lshlrev_b32 v2, 2, v2
	v_add_nc_u32_e32 v5, s10, v3
	s_delay_alu instid0(VALU_DEP_2) | instskip(SKIP_1) | instid1(VALU_DEP_4)
	v_mad_u32_u24 v2, 0x104, v3, v2
	v_lshlrev_b32_e32 v3, 2, v4
	v_lshlrev_b64_e32 v[0:1], 2, v[0:1]
	s_delay_alu instid0(VALU_DEP_4) | instskip(NEXT) | instid1(VALU_DEP_2)
	v_lshlrev_b64_e32 v[5:6], 2, v[5:6]
	v_add_co_u32 v0, vcc_lo, s0, v0
	s_wait_alu 0xfffd
	s_delay_alu instid0(VALU_DEP_3) | instskip(NEXT) | instid1(VALU_DEP_2)
	v_add_co_ci_u32_e64 v1, null, s1, v1, vcc_lo
	v_add_co_u32 v0, vcc_lo, v0, v5
	s_wait_alu 0xfffd
	s_delay_alu instid0(VALU_DEP_2)
	v_add_co_ci_u32_e64 v1, null, v1, v6, vcc_lo
.LBB4_3:                                ; =>This Inner Loop Header: Depth=1
	ds_load_b32 v4, v2
	s_wait_alu 0xfffe
	s_add_nc_u64 s[6:7], s[6:7], s[4:5]
	v_add_nc_u32_e32 v2, v2, v3
	s_wait_alu 0xfffe
	v_cmp_gt_u64_e64 s0, s[6:7], 63
	s_and_b32 vcc_lo, exec_lo, s0
	s_wait_dscnt 0x0
	global_store_b32 v[0:1], v4, off
	v_add_co_u32 v0, s0, v0, s2
	s_wait_alu 0xf1ff
	v_add_co_ci_u32_e64 v1, null, s3, v1, s0
	s_wait_alu 0xfffe
	s_cbranch_vccz .LBB4_3
; %bb.4:
	s_endpgm
	.section	.rodata,"a",@progbits
	.p2align	6, 0x0
	.amdhsa_kernel _Z27transposeLdsNoBankConflictsIfEvPT_PKS0_m
		.amdhsa_group_segment_fixed_size 16640
		.amdhsa_private_segment_fixed_size 0
		.amdhsa_kernarg_size 280
		.amdhsa_user_sgpr_count 2
		.amdhsa_user_sgpr_dispatch_ptr 0
		.amdhsa_user_sgpr_queue_ptr 0
		.amdhsa_user_sgpr_kernarg_segment_ptr 1
		.amdhsa_user_sgpr_dispatch_id 0
		.amdhsa_user_sgpr_private_segment_size 0
		.amdhsa_wavefront_size32 1
		.amdhsa_uses_dynamic_stack 0
		.amdhsa_enable_private_segment 0
		.amdhsa_system_sgpr_workgroup_id_x 1
		.amdhsa_system_sgpr_workgroup_id_y 1
		.amdhsa_system_sgpr_workgroup_id_z 0
		.amdhsa_system_sgpr_workgroup_info 0
		.amdhsa_system_vgpr_workitem_id 1
		.amdhsa_next_free_vgpr 9
		.amdhsa_next_free_sgpr 13
		.amdhsa_reserve_vcc 1
		.amdhsa_float_round_mode_32 0
		.amdhsa_float_round_mode_16_64 0
		.amdhsa_float_denorm_mode_32 3
		.amdhsa_float_denorm_mode_16_64 3
		.amdhsa_fp16_overflow 0
		.amdhsa_workgroup_processor_mode 1
		.amdhsa_memory_ordered 1
		.amdhsa_forward_progress 1
		.amdhsa_inst_pref_size 5
		.amdhsa_round_robin_scheduling 0
		.amdhsa_exception_fp_ieee_invalid_op 0
		.amdhsa_exception_fp_denorm_src 0
		.amdhsa_exception_fp_ieee_div_zero 0
		.amdhsa_exception_fp_ieee_overflow 0
		.amdhsa_exception_fp_ieee_underflow 0
		.amdhsa_exception_fp_ieee_inexact 0
		.amdhsa_exception_int_div_zero 0
	.end_amdhsa_kernel
	.section	.text._Z27transposeLdsNoBankConflictsIfEvPT_PKS0_m,"axG",@progbits,_Z27transposeLdsNoBankConflictsIfEvPT_PKS0_m,comdat
.Lfunc_end4:
	.size	_Z27transposeLdsNoBankConflictsIfEvPT_PKS0_m, .Lfunc_end4-_Z27transposeLdsNoBankConflictsIfEvPT_PKS0_m
                                        ; -- End function
	.set _Z27transposeLdsNoBankConflictsIfEvPT_PKS0_m.num_vgpr, 9
	.set _Z27transposeLdsNoBankConflictsIfEvPT_PKS0_m.num_agpr, 0
	.set _Z27transposeLdsNoBankConflictsIfEvPT_PKS0_m.numbered_sgpr, 13
	.set _Z27transposeLdsNoBankConflictsIfEvPT_PKS0_m.num_named_barrier, 0
	.set _Z27transposeLdsNoBankConflictsIfEvPT_PKS0_m.private_seg_size, 0
	.set _Z27transposeLdsNoBankConflictsIfEvPT_PKS0_m.uses_vcc, 1
	.set _Z27transposeLdsNoBankConflictsIfEvPT_PKS0_m.uses_flat_scratch, 0
	.set _Z27transposeLdsNoBankConflictsIfEvPT_PKS0_m.has_dyn_sized_stack, 0
	.set _Z27transposeLdsNoBankConflictsIfEvPT_PKS0_m.has_recursion, 0
	.set _Z27transposeLdsNoBankConflictsIfEvPT_PKS0_m.has_indirect_call, 0
	.section	.AMDGPU.csdata,"",@progbits
; Kernel info:
; codeLenInByte = 536
; TotalNumSgprs: 15
; NumVgprs: 9
; ScratchSize: 0
; MemoryBound: 0
; FloatMode: 240
; IeeeMode: 1
; LDSByteSize: 16640 bytes/workgroup (compile time only)
; SGPRBlocks: 0
; VGPRBlocks: 1
; NumSGPRsForWavesPerEU: 15
; NumVGPRsForWavesPerEU: 9
; Occupancy: 16
; WaveLimiterHint : 0
; COMPUTE_PGM_RSRC2:SCRATCH_EN: 0
; COMPUTE_PGM_RSRC2:USER_SGPR: 2
; COMPUTE_PGM_RSRC2:TRAP_HANDLER: 0
; COMPUTE_PGM_RSRC2:TGID_X_EN: 1
; COMPUTE_PGM_RSRC2:TGID_Y_EN: 1
; COMPUTE_PGM_RSRC2:TGID_Z_EN: 0
; COMPUTE_PGM_RSRC2:TIDIG_COMP_CNT: 1
	.section	.text._Z23transposeLdsSwapInplaceIfEvPT_PKS0_m,"axG",@progbits,_Z23transposeLdsSwapInplaceIfEvPT_PKS0_m,comdat
	.protected	_Z23transposeLdsSwapInplaceIfEvPT_PKS0_m ; -- Begin function _Z23transposeLdsSwapInplaceIfEvPT_PKS0_m
	.globl	_Z23transposeLdsSwapInplaceIfEvPT_PKS0_m
	.p2align	8
	.type	_Z23transposeLdsSwapInplaceIfEvPT_PKS0_m,@function
_Z23transposeLdsSwapInplaceIfEvPT_PKS0_m: ; @_Z23transposeLdsSwapInplaceIfEvPT_PKS0_m
; %bb.0:
	s_clause 0x1
	s_load_b64 s[8:9], s[0:1], 0x10
	s_load_b128 s[4:7], s[0:1], 0x0
	v_bfe_u32 v1, v0, 10, 10
	v_dual_mov_b32 v2, 0 :: v_dual_and_b32 v3, 0x3ff, v0
	s_lshl_b32 s10, ttmp9, 6
	s_delay_alu instid0(VALU_DEP_2) | instskip(NEXT) | instid1(VALU_DEP_2)
	v_cmp_gt_u32_e32 vcc_lo, 64, v1
	v_lshlrev_b32_e32 v0, 2, v3
	s_wait_kmcnt 0x0
	v_mul_lo_u32 v10, 0, s8
	s_and_saveexec_b32 s11, vcc_lo
	s_cbranch_execz .LBB5_3
; %bb.1:
	global_load_u16 v6, v2, s[0:1] offset:38
	s_lshl_b32 s2, ttmp7, 6
	v_lshl_add_u32 v12, v1, 8, v0
	v_add_co_u32 v4, s2, v1, s2
	s_wait_alu 0xf1ff
	v_add_co_ci_u32_e64 v5, null, 0, 0, s2
	s_delay_alu instid0(VALU_DEP_2) | instskip(NEXT) | instid1(VALU_DEP_2)
	v_mul_lo_u32 v7, s9, v4
	v_mul_lo_u32 v8, s8, v5
	v_mad_co_u64_u32 v[4:5], null, s8, v4, 0
	s_delay_alu instid0(VALU_DEP_1) | instskip(SKIP_1) | instid1(VALU_DEP_2)
	v_add3_u32 v5, v5, v8, v7
	v_mov_b32_e32 v7, v2
	v_lshlrev_b64_e32 v[4:5], 2, v[4:5]
	s_wait_loadcnt 0x0
	v_and_b32_e32 v11, 0xffff, v6
	v_add_nc_u32_e32 v6, s10, v3
	s_delay_alu instid0(VALU_DEP_2) | instskip(SKIP_1) | instid1(VALU_DEP_3)
	v_mul_lo_u32 v9, v11, s9
	v_mul_hi_u32 v14, v11, s8
	v_lshlrev_b64_e32 v[6:7], 2, v[6:7]
	v_mul_lo_u32 v8, v11, s8
	s_delay_alu instid0(VALU_DEP_2) | instskip(SKIP_2) | instid1(VALU_DEP_4)
	v_add_co_u32 v4, s2, v4, v6
	v_add_nc_u32_e32 v9, v9, v10
	s_wait_alu 0xf1ff
	v_add_co_ci_u32_e64 v5, null, v5, v7, s2
	s_delay_alu instid0(VALU_DEP_3) | instskip(NEXT) | instid1(VALU_DEP_3)
	v_add_co_u32 v4, s2, s6, v4
	v_add_nc_u32_e32 v9, v9, v14
	s_wait_alu 0xf1ff
	s_delay_alu instid0(VALU_DEP_3)
	v_add_co_ci_u32_e64 v5, null, s7, v5, s2
	s_mov_b32 s6, 0
	v_lshlrev_b64_e32 v[6:7], 2, v[8:9]
	v_dual_mov_b32 v9, v2 :: v_dual_mov_b32 v8, v1
	v_lshlrev_b32_e32 v13, 8, v11
.LBB5_2:                                ; =>This Inner Loop Header: Depth=1
	global_load_b32 v14, v[4:5], off
	v_add_co_u32 v8, s2, v8, v11
	s_wait_alu 0xf1ff
	v_add_co_ci_u32_e64 v9, null, 0, v9, s2
	v_add_co_u32 v4, s2, v4, v6
	s_wait_alu 0xf1ff
	v_add_co_ci_u32_e64 v5, null, v5, v7, s2
	s_delay_alu instid0(VALU_DEP_3)
	v_cmp_lt_u64_e64 s3, 63, v[8:9]
	s_wait_alu 0xfffe
	s_or_b32 s6, s3, s6
	s_wait_loadcnt 0x0
	ds_store_b32 v12, v14
	v_add_nc_u32_e32 v12, v12, v13
	s_wait_alu 0xfffe
	s_and_not1_b32 exec_lo, exec_lo, s6
	s_cbranch_execnz .LBB5_2
.LBB5_3:
	s_or_b32 exec_lo, exec_lo, s11
	s_wait_dscnt 0x0
	s_barrier_signal -1
	s_barrier_wait -1
	global_inv scope:SCOPE_SE
	s_and_saveexec_b32 s3, vcc_lo
	s_cbranch_execz .LBB5_8
; %bb.4:
	v_dual_mov_b32 v4, 0 :: v_dual_lshlrev_b32 v9, 2, v1
	v_mul_u32_u24_e32 v6, 0xfc, v3
	v_lshl_add_u32 v8, v1, 8, v0
	s_mov_b32 s6, 0
	global_load_u16 v5, v4, s[0:1] offset:38
	v_add3_u32 v9, v6, v0, v9
	s_wait_loadcnt 0x0
	v_dual_mov_b32 v6, v2 :: v_dual_and_b32 v7, 0xffff, v5
	s_delay_alu instid0(VALU_DEP_1)
	v_dual_mov_b32 v5, v1 :: v_dual_lshlrev_b32 v12, 2, v7
	v_lshlrev_b32_e32 v11, 8, v7
	s_branch .LBB5_6
.LBB5_5:                                ;   in Loop: Header=BB5_6 Depth=1
	s_wait_alu 0xfffe
	s_or_b32 exec_lo, exec_lo, s7
	v_add_co_u32 v5, s2, v5, v7
	s_wait_alu 0xf1ff
	v_add_co_ci_u32_e64 v6, null, 0, v6, s2
	v_add_nc_u32_e32 v8, v8, v11
	v_add_nc_u32_e32 v9, v9, v12
	s_delay_alu instid0(VALU_DEP_3)
	v_cmp_lt_u64_e64 s2, 63, v[5:6]
	s_or_b32 s6, s2, s6
	s_wait_alu 0xfffe
	s_and_not1_b32 exec_lo, exec_lo, s6
	s_cbranch_execz .LBB5_8
.LBB5_6:                                ; =>This Inner Loop Header: Depth=1
	s_mov_b32 s7, exec_lo
	s_delay_alu instid0(VALU_DEP_2)
	v_cmpx_lt_u64_e64 v[5:6], v[3:4]
	s_cbranch_execz .LBB5_5
; %bb.7:                                ;   in Loop: Header=BB5_6 Depth=1
	ds_load_b32 v13, v9
	ds_load_b32 v14, v8
	s_wait_dscnt 0x1
	ds_store_b32 v8, v13
	s_wait_dscnt 0x1
	ds_store_b32 v9, v14
	s_branch .LBB5_5
.LBB5_8:
	s_wait_alu 0xfffe
	s_or_b32 exec_lo, exec_lo, s3
	s_wait_loadcnt_dscnt 0x0
	s_barrier_signal -1
	s_barrier_wait -1
	global_inv scope:SCOPE_SE
	s_and_saveexec_b32 s2, vcc_lo
	s_cbranch_execz .LBB5_11
; %bb.9:
	v_mov_b32_e32 v4, 0
	v_lshl_add_u32 v3, ttmp7, 6, v3
	v_lshl_add_u32 v0, v1, 8, v0
	global_load_u16 v5, v4, s[0:1] offset:38
	v_add_co_u32 v6, s0, v1, s10
	s_wait_alu 0xf1ff
	v_add_co_ci_u32_e64 v7, null, 0, 0, s0
	s_mov_b32 s1, 0
	v_mul_lo_u32 v8, s9, v6
	v_mul_lo_u32 v9, s8, v7
	s_wait_loadcnt 0x0
	v_and_b32_e32 v7, 0xffff, v5
	v_mad_co_u64_u32 v[5:6], null, s8, v6, 0
	v_lshlrev_b64_e32 v[3:4], 2, v[3:4]
	s_delay_alu instid0(VALU_DEP_3) | instskip(NEXT) | instid1(VALU_DEP_3)
	v_mul_lo_u32 v11, v7, s9
	v_add3_u32 v6, v6, v9, v8
	v_mul_hi_u32 v8, v7, s8
	v_mul_lo_u32 v9, v7, s8
	s_delay_alu instid0(VALU_DEP_4) | instskip(NEXT) | instid1(VALU_DEP_4)
	v_add_nc_u32_e32 v10, v11, v10
	v_lshlrev_b64_e32 v[5:6], 2, v[5:6]
	s_delay_alu instid0(VALU_DEP_2) | instskip(SKIP_1) | instid1(VALU_DEP_3)
	v_add_nc_u32_e32 v10, v10, v8
	v_lshlrev_b32_e32 v8, 8, v7
	v_add_co_u32 v5, vcc_lo, v5, v3
	s_delay_alu instid0(VALU_DEP_1) | instskip(NEXT) | instid1(VALU_DEP_4)
	v_add_co_ci_u32_e64 v6, null, v6, v4, vcc_lo
	v_lshlrev_b64_e32 v[3:4], 2, v[9:10]
	s_delay_alu instid0(VALU_DEP_3) | instskip(SKIP_1) | instid1(VALU_DEP_3)
	v_add_co_u32 v5, vcc_lo, s4, v5
	s_wait_alu 0xfffd
	v_add_co_ci_u32_e64 v6, null, s5, v6, vcc_lo
.LBB5_10:                               ; =>This Inner Loop Header: Depth=1
	ds_load_b32 v9, v0
	v_add_co_u32 v1, vcc_lo, v1, v7
	s_wait_alu 0xfffd
	v_add_co_ci_u32_e64 v2, null, 0, v2, vcc_lo
	v_add_nc_u32_e32 v0, v0, v8
	s_delay_alu instid0(VALU_DEP_2)
	v_cmp_lt_u64_e32 vcc_lo, 63, v[1:2]
	s_wait_alu 0xfffe
	s_or_b32 s1, vcc_lo, s1
	s_wait_dscnt 0x0
	global_store_b32 v[5:6], v9, off
	v_add_co_u32 v5, s0, v5, v3
	s_wait_alu 0xf1ff
	v_add_co_ci_u32_e64 v6, null, v6, v4, s0
	s_wait_alu 0xfffe
	s_and_not1_b32 exec_lo, exec_lo, s1
	s_cbranch_execnz .LBB5_10
.LBB5_11:
	s_endpgm
	.section	.rodata,"a",@progbits
	.p2align	6, 0x0
	.amdhsa_kernel _Z23transposeLdsSwapInplaceIfEvPT_PKS0_m
		.amdhsa_group_segment_fixed_size 16384
		.amdhsa_private_segment_fixed_size 0
		.amdhsa_kernarg_size 280
		.amdhsa_user_sgpr_count 2
		.amdhsa_user_sgpr_dispatch_ptr 0
		.amdhsa_user_sgpr_queue_ptr 0
		.amdhsa_user_sgpr_kernarg_segment_ptr 1
		.amdhsa_user_sgpr_dispatch_id 0
		.amdhsa_user_sgpr_private_segment_size 0
		.amdhsa_wavefront_size32 1
		.amdhsa_uses_dynamic_stack 0
		.amdhsa_enable_private_segment 0
		.amdhsa_system_sgpr_workgroup_id_x 1
		.amdhsa_system_sgpr_workgroup_id_y 1
		.amdhsa_system_sgpr_workgroup_id_z 0
		.amdhsa_system_sgpr_workgroup_info 0
		.amdhsa_system_vgpr_workitem_id 1
		.amdhsa_next_free_vgpr 15
		.amdhsa_next_free_sgpr 12
		.amdhsa_reserve_vcc 1
		.amdhsa_float_round_mode_32 0
		.amdhsa_float_round_mode_16_64 0
		.amdhsa_float_denorm_mode_32 3
		.amdhsa_float_denorm_mode_16_64 3
		.amdhsa_fp16_overflow 0
		.amdhsa_workgroup_processor_mode 1
		.amdhsa_memory_ordered 1
		.amdhsa_forward_progress 1
		.amdhsa_inst_pref_size 8
		.amdhsa_round_robin_scheduling 0
		.amdhsa_exception_fp_ieee_invalid_op 0
		.amdhsa_exception_fp_denorm_src 0
		.amdhsa_exception_fp_ieee_div_zero 0
		.amdhsa_exception_fp_ieee_overflow 0
		.amdhsa_exception_fp_ieee_underflow 0
		.amdhsa_exception_fp_ieee_inexact 0
		.amdhsa_exception_int_div_zero 0
	.end_amdhsa_kernel
	.section	.text._Z23transposeLdsSwapInplaceIfEvPT_PKS0_m,"axG",@progbits,_Z23transposeLdsSwapInplaceIfEvPT_PKS0_m,comdat
.Lfunc_end5:
	.size	_Z23transposeLdsSwapInplaceIfEvPT_PKS0_m, .Lfunc_end5-_Z23transposeLdsSwapInplaceIfEvPT_PKS0_m
                                        ; -- End function
	.set _Z23transposeLdsSwapInplaceIfEvPT_PKS0_m.num_vgpr, 15
	.set _Z23transposeLdsSwapInplaceIfEvPT_PKS0_m.num_agpr, 0
	.set _Z23transposeLdsSwapInplaceIfEvPT_PKS0_m.numbered_sgpr, 12
	.set _Z23transposeLdsSwapInplaceIfEvPT_PKS0_m.num_named_barrier, 0
	.set _Z23transposeLdsSwapInplaceIfEvPT_PKS0_m.private_seg_size, 0
	.set _Z23transposeLdsSwapInplaceIfEvPT_PKS0_m.uses_vcc, 1
	.set _Z23transposeLdsSwapInplaceIfEvPT_PKS0_m.uses_flat_scratch, 0
	.set _Z23transposeLdsSwapInplaceIfEvPT_PKS0_m.has_dyn_sized_stack, 0
	.set _Z23transposeLdsSwapInplaceIfEvPT_PKS0_m.has_recursion, 0
	.set _Z23transposeLdsSwapInplaceIfEvPT_PKS0_m.has_indirect_call, 0
	.section	.AMDGPU.csdata,"",@progbits
; Kernel info:
; codeLenInByte = 988
; TotalNumSgprs: 14
; NumVgprs: 15
; ScratchSize: 0
; MemoryBound: 0
; FloatMode: 240
; IeeeMode: 1
; LDSByteSize: 16384 bytes/workgroup (compile time only)
; SGPRBlocks: 0
; VGPRBlocks: 1
; NumSGPRsForWavesPerEU: 14
; NumVGPRsForWavesPerEU: 15
; Occupancy: 16
; WaveLimiterHint : 0
; COMPUTE_PGM_RSRC2:SCRATCH_EN: 0
; COMPUTE_PGM_RSRC2:USER_SGPR: 2
; COMPUTE_PGM_RSRC2:TRAP_HANDLER: 0
; COMPUTE_PGM_RSRC2:TGID_X_EN: 1
; COMPUTE_PGM_RSRC2:TGID_Y_EN: 1
; COMPUTE_PGM_RSRC2:TGID_Z_EN: 0
; COMPUTE_PGM_RSRC2:TIDIG_COMP_CNT: 1
	.section	.text._Z14transposeNaiveIdEvPT_PKS0_m,"axG",@progbits,_Z14transposeNaiveIdEvPT_PKS0_m,comdat
	.protected	_Z14transposeNaiveIdEvPT_PKS0_m ; -- Begin function _Z14transposeNaiveIdEvPT_PKS0_m
	.globl	_Z14transposeNaiveIdEvPT_PKS0_m
	.p2align	8
	.type	_Z14transposeNaiveIdEvPT_PKS0_m,@function
_Z14transposeNaiveIdEvPT_PKS0_m:        ; @_Z14transposeNaiveIdEvPT_PKS0_m
; %bb.0:
	v_bfe_u32 v1, v0, 10, 10
	s_mov_b32 s2, exec_lo
	s_delay_alu instid0(VALU_DEP_1)
	v_cmpx_gt_u32_e32 64, v1
	s_cbranch_execz .LBB6_3
; %bb.1:
	s_load_b64 s[6:7], s[0:1], 0x10
	v_and_b32_e32 v0, 0x3ff, v0
	s_lshl_b32 s4, ttmp7, 6
	s_delay_alu instid0(SALU_CYCLE_1) | instskip(NEXT) | instid1(VALU_DEP_2)
	v_add_co_u32 v2, s5, v1, s4
	v_lshl_add_u32 v3, ttmp9, 6, v0
	s_wait_alu 0xf1ff
	v_add_co_ci_u32_e64 v0, null, 0, 0, s5
	s_mov_b32 s5, 0
	s_wait_alu 0xfffe
	s_lshl_b64 s[8:9], s[4:5], 3
	s_wait_kmcnt 0x0
	v_mad_co_u64_u32 v[5:6], null, s6, v3, 0
	v_mul_lo_u32 v13, s6, v0
	v_mul_lo_u32 v12, s7, v2
	v_mad_co_u64_u32 v[7:8], null, s6, v2, 0
	s_delay_alu instid0(VALU_DEP_4) | instskip(NEXT) | instid1(VALU_DEP_2)
	v_mov_b32_e32 v0, v6
	v_add3_u32 v8, v8, v13, v12
	s_delay_alu instid0(VALU_DEP_2) | instskip(SKIP_1) | instid1(VALU_DEP_3)
	v_mad_co_u64_u32 v[9:10], null, s7, v3, v[0:1]
	v_lshlrev_b32_e32 v10, 3, v1
	v_lshlrev_b64_e32 v[7:8], 3, v[7:8]
	s_delay_alu instid0(VALU_DEP_3) | instskip(SKIP_2) | instid1(VALU_DEP_3)
	v_mov_b32_e32 v6, v9
	v_mul_lo_u32 v9, 0, s6
	v_mov_b32_e32 v4, 0
	v_lshlrev_b64_e32 v[5:6], 3, v[5:6]
	global_load_u16 v11, v4, s[0:1] offset:38
	s_load_b128 s[0:3], s[0:1], 0x0
	s_wait_kmcnt 0x0
	s_add_nc_u64 s[0:1], s[0:1], s[8:9]
	s_wait_loadcnt 0x0
	v_and_b32_e32 v0, 0xffff, v11
	v_mov_b32_e32 v2, v4
	v_lshlrev_b64_e32 v[3:4], 3, v[3:4]
	s_delay_alu instid0(VALU_DEP_3) | instskip(SKIP_1) | instid1(VALU_DEP_3)
	v_mul_lo_u32 v11, v0, s7
	v_mul_hi_u32 v12, v0, s6
	v_add_co_u32 v13, vcc_lo, v7, v3
	v_mul_lo_u32 v7, v0, s6
	v_add_co_ci_u32_e64 v14, null, v8, v4, vcc_lo
	v_add_nc_u32_e32 v3, v11, v9
	v_add_co_u32 v4, vcc_lo, v5, v10
	s_wait_alu 0xfffd
	v_add_co_ci_u32_e64 v5, null, 0, v6, vcc_lo
	s_delay_alu instid0(VALU_DEP_3)
	v_add_nc_u32_e32 v8, v3, v12
	s_wait_alu 0xfffe
	v_add_co_u32 v3, vcc_lo, s0, v4
	s_wait_alu 0xfffd
	v_add_co_ci_u32_e64 v4, null, s1, v5, vcc_lo
	v_lshlrev_b64_e32 v[5:6], 3, v[7:8]
	v_add_co_u32 v7, vcc_lo, s2, v13
	v_lshlrev_b32_e32 v9, 3, v0
	s_wait_alu 0xfffd
	v_add_co_ci_u32_e64 v8, null, s3, v14, vcc_lo
.LBB6_2:                                ; =>This Inner Loop Header: Depth=1
	global_load_b64 v[10:11], v[7:8], off
	v_add_co_u32 v1, vcc_lo, v1, v0
	s_wait_alu 0xfffd
	v_add_co_ci_u32_e64 v2, null, 0, v2, vcc_lo
	v_add_co_u32 v7, vcc_lo, v7, v5
	s_wait_alu 0xfffd
	v_add_co_ci_u32_e64 v8, null, v8, v6, vcc_lo
	s_delay_alu instid0(VALU_DEP_3)
	v_cmp_lt_u64_e32 vcc_lo, 63, v[1:2]
	s_or_b32 s5, vcc_lo, s5
	s_wait_loadcnt 0x0
	global_store_b64 v[3:4], v[10:11], off
	v_add_co_u32 v3, s0, v3, v9
	s_wait_alu 0xf1ff
	v_add_co_ci_u32_e64 v4, null, 0, v4, s0
	s_wait_alu 0xfffe
	s_and_not1_b32 exec_lo, exec_lo, s5
	s_cbranch_execnz .LBB6_2
.LBB6_3:
	s_endpgm
	.section	.rodata,"a",@progbits
	.p2align	6, 0x0
	.amdhsa_kernel _Z14transposeNaiveIdEvPT_PKS0_m
		.amdhsa_group_segment_fixed_size 0
		.amdhsa_private_segment_fixed_size 0
		.amdhsa_kernarg_size 280
		.amdhsa_user_sgpr_count 2
		.amdhsa_user_sgpr_dispatch_ptr 0
		.amdhsa_user_sgpr_queue_ptr 0
		.amdhsa_user_sgpr_kernarg_segment_ptr 1
		.amdhsa_user_sgpr_dispatch_id 0
		.amdhsa_user_sgpr_private_segment_size 0
		.amdhsa_wavefront_size32 1
		.amdhsa_uses_dynamic_stack 0
		.amdhsa_enable_private_segment 0
		.amdhsa_system_sgpr_workgroup_id_x 1
		.amdhsa_system_sgpr_workgroup_id_y 1
		.amdhsa_system_sgpr_workgroup_id_z 0
		.amdhsa_system_sgpr_workgroup_info 0
		.amdhsa_system_vgpr_workitem_id 1
		.amdhsa_next_free_vgpr 15
		.amdhsa_next_free_sgpr 10
		.amdhsa_reserve_vcc 1
		.amdhsa_float_round_mode_32 0
		.amdhsa_float_round_mode_16_64 0
		.amdhsa_float_denorm_mode_32 3
		.amdhsa_float_denorm_mode_16_64 3
		.amdhsa_fp16_overflow 0
		.amdhsa_workgroup_processor_mode 1
		.amdhsa_memory_ordered 1
		.amdhsa_forward_progress 1
		.amdhsa_inst_pref_size 4
		.amdhsa_round_robin_scheduling 0
		.amdhsa_exception_fp_ieee_invalid_op 0
		.amdhsa_exception_fp_denorm_src 0
		.amdhsa_exception_fp_ieee_div_zero 0
		.amdhsa_exception_fp_ieee_overflow 0
		.amdhsa_exception_fp_ieee_underflow 0
		.amdhsa_exception_fp_ieee_inexact 0
		.amdhsa_exception_int_div_zero 0
	.end_amdhsa_kernel
	.section	.text._Z14transposeNaiveIdEvPT_PKS0_m,"axG",@progbits,_Z14transposeNaiveIdEvPT_PKS0_m,comdat
.Lfunc_end6:
	.size	_Z14transposeNaiveIdEvPT_PKS0_m, .Lfunc_end6-_Z14transposeNaiveIdEvPT_PKS0_m
                                        ; -- End function
	.set _Z14transposeNaiveIdEvPT_PKS0_m.num_vgpr, 15
	.set _Z14transposeNaiveIdEvPT_PKS0_m.num_agpr, 0
	.set _Z14transposeNaiveIdEvPT_PKS0_m.numbered_sgpr, 10
	.set _Z14transposeNaiveIdEvPT_PKS0_m.num_named_barrier, 0
	.set _Z14transposeNaiveIdEvPT_PKS0_m.private_seg_size, 0
	.set _Z14transposeNaiveIdEvPT_PKS0_m.uses_vcc, 1
	.set _Z14transposeNaiveIdEvPT_PKS0_m.uses_flat_scratch, 0
	.set _Z14transposeNaiveIdEvPT_PKS0_m.has_dyn_sized_stack, 0
	.set _Z14transposeNaiveIdEvPT_PKS0_m.has_recursion, 0
	.set _Z14transposeNaiveIdEvPT_PKS0_m.has_indirect_call, 0
	.section	.AMDGPU.csdata,"",@progbits
; Kernel info:
; codeLenInByte = 476
; TotalNumSgprs: 12
; NumVgprs: 15
; ScratchSize: 0
; MemoryBound: 0
; FloatMode: 240
; IeeeMode: 1
; LDSByteSize: 0 bytes/workgroup (compile time only)
; SGPRBlocks: 0
; VGPRBlocks: 1
; NumSGPRsForWavesPerEU: 12
; NumVGPRsForWavesPerEU: 15
; Occupancy: 16
; WaveLimiterHint : 0
; COMPUTE_PGM_RSRC2:SCRATCH_EN: 0
; COMPUTE_PGM_RSRC2:USER_SGPR: 2
; COMPUTE_PGM_RSRC2:TRAP_HANDLER: 0
; COMPUTE_PGM_RSRC2:TGID_X_EN: 1
; COMPUTE_PGM_RSRC2:TGID_Y_EN: 1
; COMPUTE_PGM_RSRC2:TGID_Z_EN: 0
; COMPUTE_PGM_RSRC2:TIDIG_COMP_CNT: 1
	.section	.text._Z27transposeLdsNoBankConflictsIdEvPT_PKS0_m,"axG",@progbits,_Z27transposeLdsNoBankConflictsIdEvPT_PKS0_m,comdat
	.protected	_Z27transposeLdsNoBankConflictsIdEvPT_PKS0_m ; -- Begin function _Z27transposeLdsNoBankConflictsIdEvPT_PKS0_m
	.globl	_Z27transposeLdsNoBankConflictsIdEvPT_PKS0_m
	.p2align	8
	.type	_Z27transposeLdsNoBankConflictsIdEvPT_PKS0_m,@function
_Z27transposeLdsNoBankConflictsIdEvPT_PKS0_m: ; @_Z27transposeLdsNoBankConflictsIdEvPT_PKS0_m
; %bb.0:
	v_bfe_u32 v2, v0, 10, 10
	s_lshl_b32 s10, ttmp7, 6
	v_mov_b32_e32 v1, 0
	s_load_b64 s[6:7], s[0:1], 0x10
	s_lshl_b32 s11, ttmp9, 6
	v_add_nc_u32_e32 v6, s10, v2
	s_mov_b32 s5, 0
	global_load_u16 v7, v1, s[0:1] offset:38
	s_load_b128 s[0:3], s[0:1], 0x0
	s_mov_b64 s[8:9], 0
	s_wait_kmcnt 0x0
	v_mad_co_u64_u32 v[4:5], null, s6, v6, 0
	s_delay_alu instid0(VALU_DEP_1) | instskip(NEXT) | instid1(VALU_DEP_1)
	v_mov_b32_e32 v3, v5
	v_mad_co_u64_u32 v[5:6], null, s7, v6, v[3:4]
	v_and_b32_e32 v3, 0x3ff, v0
	s_delay_alu instid0(VALU_DEP_1) | instskip(NEXT) | instid1(VALU_DEP_3)
	v_add_nc_u32_e32 v0, s11, v3
	v_lshlrev_b64_e32 v[4:5], 3, v[4:5]
	v_lshlrev_b32_e32 v6, 3, v3
	s_delay_alu instid0(VALU_DEP_3) | instskip(NEXT) | instid1(VALU_DEP_3)
	v_lshlrev_b64_e32 v[0:1], 3, v[0:1]
	v_add_co_u32 v8, vcc_lo, s2, v4
	s_delay_alu instid0(VALU_DEP_1) | instskip(NEXT) | instid1(VALU_DEP_4)
	v_add_co_ci_u32_e64 v5, null, s3, v5, vcc_lo
	v_mad_u32_u24 v6, 0x208, v2, v6
	s_delay_alu instid0(VALU_DEP_3) | instskip(SKIP_1) | instid1(VALU_DEP_3)
	v_add_co_u32 v0, vcc_lo, v8, v0
	s_wait_alu 0xfffd
	v_add_co_ci_u32_e64 v1, null, v5, v1, vcc_lo
	s_wait_loadcnt 0x0
	v_and_b32_e32 v4, 0xffff, v7
	v_readfirstlane_b32 s2, v7
	s_delay_alu instid0(VALU_DEP_2) | instskip(SKIP_1) | instid1(SALU_CYCLE_1)
	v_mul_lo_u32 v5, 0x208, v4
	s_and_b32 s4, s2, 0xffff
	s_mul_u64 s[2:3], s[6:7], s[4:5]
	s_wait_alu 0xfffe
	s_lshl_b64 s[2:3], s[2:3], 3
.LBB7_1:                                ; =>This Inner Loop Header: Depth=1
	global_load_b64 v[7:8], v[0:1], off
	s_add_nc_u64 s[8:9], s[8:9], s[4:5]
	s_wait_alu 0xfffe
	v_add_co_u32 v0, vcc_lo, v0, s2
	v_cmp_gt_u64_e64 s12, s[8:9], 63
	s_wait_alu 0xfffd
	v_add_co_ci_u32_e64 v1, null, s3, v1, vcc_lo
	s_and_b32 vcc_lo, exec_lo, s12
	s_wait_loadcnt 0x0
	ds_store_b64 v6, v[7:8]
	v_add_nc_u32_e32 v6, v6, v5
	s_wait_alu 0xfffe
	s_cbranch_vccz .LBB7_1
; %bb.2:
	v_add_nc_u32_e32 v5, s11, v2
	s_wait_dscnt 0x0
	s_barrier_signal -1
	s_barrier_wait -1
	global_inv scope:SCOPE_SE
	v_mad_co_u64_u32 v[0:1], null, s6, v5, 0
	s_delay_alu instid0(VALU_DEP_1) | instskip(SKIP_2) | instid1(VALU_DEP_2)
	v_mad_co_u64_u32 v[5:6], null, s7, v5, v[1:2]
	v_mov_b32_e32 v6, 0
	s_mov_b64 s[6:7], 0
	v_dual_mov_b32 v1, v5 :: v_dual_lshlrev_b32 v2, 3, v2
	v_add_nc_u32_e32 v5, s10, v3
	s_delay_alu instid0(VALU_DEP_2) | instskip(SKIP_1) | instid1(VALU_DEP_4)
	v_mad_u32_u24 v2, 0x208, v3, v2
	v_lshlrev_b32_e32 v3, 3, v4
	v_lshlrev_b64_e32 v[0:1], 3, v[0:1]
	s_delay_alu instid0(VALU_DEP_4) | instskip(NEXT) | instid1(VALU_DEP_2)
	v_lshlrev_b64_e32 v[5:6], 3, v[5:6]
	v_add_co_u32 v0, vcc_lo, s0, v0
	s_wait_alu 0xfffd
	s_delay_alu instid0(VALU_DEP_3) | instskip(NEXT) | instid1(VALU_DEP_2)
	v_add_co_ci_u32_e64 v1, null, s1, v1, vcc_lo
	v_add_co_u32 v0, vcc_lo, v0, v5
	s_wait_alu 0xfffd
	s_delay_alu instid0(VALU_DEP_2)
	v_add_co_ci_u32_e64 v1, null, v1, v6, vcc_lo
.LBB7_3:                                ; =>This Inner Loop Header: Depth=1
	ds_load_b64 v[4:5], v2
	s_wait_alu 0xfffe
	s_add_nc_u64 s[6:7], s[6:7], s[4:5]
	v_add_nc_u32_e32 v2, v2, v3
	s_wait_alu 0xfffe
	v_cmp_gt_u64_e64 s0, s[6:7], 63
	s_and_b32 vcc_lo, exec_lo, s0
	s_wait_dscnt 0x0
	global_store_b64 v[0:1], v[4:5], off
	v_add_co_u32 v0, s0, v0, s2
	s_wait_alu 0xf1ff
	v_add_co_ci_u32_e64 v1, null, s3, v1, s0
	s_wait_alu 0xfffe
	s_cbranch_vccz .LBB7_3
; %bb.4:
	s_endpgm
	.section	.rodata,"a",@progbits
	.p2align	6, 0x0
	.amdhsa_kernel _Z27transposeLdsNoBankConflictsIdEvPT_PKS0_m
		.amdhsa_group_segment_fixed_size 33280
		.amdhsa_private_segment_fixed_size 0
		.amdhsa_kernarg_size 280
		.amdhsa_user_sgpr_count 2
		.amdhsa_user_sgpr_dispatch_ptr 0
		.amdhsa_user_sgpr_queue_ptr 0
		.amdhsa_user_sgpr_kernarg_segment_ptr 1
		.amdhsa_user_sgpr_dispatch_id 0
		.amdhsa_user_sgpr_private_segment_size 0
		.amdhsa_wavefront_size32 1
		.amdhsa_uses_dynamic_stack 0
		.amdhsa_enable_private_segment 0
		.amdhsa_system_sgpr_workgroup_id_x 1
		.amdhsa_system_sgpr_workgroup_id_y 1
		.amdhsa_system_sgpr_workgroup_id_z 0
		.amdhsa_system_sgpr_workgroup_info 0
		.amdhsa_system_vgpr_workitem_id 1
		.amdhsa_next_free_vgpr 9
		.amdhsa_next_free_sgpr 13
		.amdhsa_reserve_vcc 1
		.amdhsa_float_round_mode_32 0
		.amdhsa_float_round_mode_16_64 0
		.amdhsa_float_denorm_mode_32 3
		.amdhsa_float_denorm_mode_16_64 3
		.amdhsa_fp16_overflow 0
		.amdhsa_workgroup_processor_mode 1
		.amdhsa_memory_ordered 1
		.amdhsa_forward_progress 1
		.amdhsa_inst_pref_size 5
		.amdhsa_round_robin_scheduling 0
		.amdhsa_exception_fp_ieee_invalid_op 0
		.amdhsa_exception_fp_denorm_src 0
		.amdhsa_exception_fp_ieee_div_zero 0
		.amdhsa_exception_fp_ieee_overflow 0
		.amdhsa_exception_fp_ieee_underflow 0
		.amdhsa_exception_fp_ieee_inexact 0
		.amdhsa_exception_int_div_zero 0
	.end_amdhsa_kernel
	.section	.text._Z27transposeLdsNoBankConflictsIdEvPT_PKS0_m,"axG",@progbits,_Z27transposeLdsNoBankConflictsIdEvPT_PKS0_m,comdat
.Lfunc_end7:
	.size	_Z27transposeLdsNoBankConflictsIdEvPT_PKS0_m, .Lfunc_end7-_Z27transposeLdsNoBankConflictsIdEvPT_PKS0_m
                                        ; -- End function
	.set _Z27transposeLdsNoBankConflictsIdEvPT_PKS0_m.num_vgpr, 9
	.set _Z27transposeLdsNoBankConflictsIdEvPT_PKS0_m.num_agpr, 0
	.set _Z27transposeLdsNoBankConflictsIdEvPT_PKS0_m.numbered_sgpr, 13
	.set _Z27transposeLdsNoBankConflictsIdEvPT_PKS0_m.num_named_barrier, 0
	.set _Z27transposeLdsNoBankConflictsIdEvPT_PKS0_m.private_seg_size, 0
	.set _Z27transposeLdsNoBankConflictsIdEvPT_PKS0_m.uses_vcc, 1
	.set _Z27transposeLdsNoBankConflictsIdEvPT_PKS0_m.uses_flat_scratch, 0
	.set _Z27transposeLdsNoBankConflictsIdEvPT_PKS0_m.has_dyn_sized_stack, 0
	.set _Z27transposeLdsNoBankConflictsIdEvPT_PKS0_m.has_recursion, 0
	.set _Z27transposeLdsNoBankConflictsIdEvPT_PKS0_m.has_indirect_call, 0
	.section	.AMDGPU.csdata,"",@progbits
; Kernel info:
; codeLenInByte = 536
; TotalNumSgprs: 15
; NumVgprs: 9
; ScratchSize: 0
; MemoryBound: 0
; FloatMode: 240
; IeeeMode: 1
; LDSByteSize: 33280 bytes/workgroup (compile time only)
; SGPRBlocks: 0
; VGPRBlocks: 1
; NumSGPRsForWavesPerEU: 15
; NumVGPRsForWavesPerEU: 9
; Occupancy: 16
; WaveLimiterHint : 0
; COMPUTE_PGM_RSRC2:SCRATCH_EN: 0
; COMPUTE_PGM_RSRC2:USER_SGPR: 2
; COMPUTE_PGM_RSRC2:TRAP_HANDLER: 0
; COMPUTE_PGM_RSRC2:TGID_X_EN: 1
; COMPUTE_PGM_RSRC2:TGID_Y_EN: 1
; COMPUTE_PGM_RSRC2:TGID_Z_EN: 0
; COMPUTE_PGM_RSRC2:TIDIG_COMP_CNT: 1
	.section	.text._Z23transposeLdsSwapInplaceIdEvPT_PKS0_m,"axG",@progbits,_Z23transposeLdsSwapInplaceIdEvPT_PKS0_m,comdat
	.protected	_Z23transposeLdsSwapInplaceIdEvPT_PKS0_m ; -- Begin function _Z23transposeLdsSwapInplaceIdEvPT_PKS0_m
	.globl	_Z23transposeLdsSwapInplaceIdEvPT_PKS0_m
	.p2align	8
	.type	_Z23transposeLdsSwapInplaceIdEvPT_PKS0_m,@function
_Z23transposeLdsSwapInplaceIdEvPT_PKS0_m: ; @_Z23transposeLdsSwapInplaceIdEvPT_PKS0_m
; %bb.0:
	s_clause 0x1
	s_load_b64 s[8:9], s[0:1], 0x10
	s_load_b128 s[4:7], s[0:1], 0x0
	v_bfe_u32 v1, v0, 10, 10
	v_dual_mov_b32 v2, 0 :: v_dual_and_b32 v3, 0x3ff, v0
	s_lshl_b32 s10, ttmp9, 6
	s_delay_alu instid0(VALU_DEP_2) | instskip(NEXT) | instid1(VALU_DEP_2)
	v_cmp_gt_u32_e32 vcc_lo, 64, v1
	v_lshlrev_b32_e32 v0, 3, v3
	s_wait_kmcnt 0x0
	v_mul_lo_u32 v10, 0, s8
	s_and_saveexec_b32 s11, vcc_lo
	s_cbranch_execz .LBB8_3
; %bb.1:
	global_load_u16 v6, v2, s[0:1] offset:38
	s_lshl_b32 s2, ttmp7, 6
	v_lshl_add_u32 v12, v1, 9, v0
	v_add_co_u32 v4, s2, v1, s2
	s_wait_alu 0xf1ff
	v_add_co_ci_u32_e64 v5, null, 0, 0, s2
	s_delay_alu instid0(VALU_DEP_2) | instskip(NEXT) | instid1(VALU_DEP_2)
	v_mul_lo_u32 v7, s9, v4
	v_mul_lo_u32 v8, s8, v5
	v_mad_co_u64_u32 v[4:5], null, s8, v4, 0
	s_delay_alu instid0(VALU_DEP_1) | instskip(SKIP_1) | instid1(VALU_DEP_2)
	v_add3_u32 v5, v5, v8, v7
	v_mov_b32_e32 v7, v2
	v_lshlrev_b64_e32 v[4:5], 3, v[4:5]
	s_wait_loadcnt 0x0
	v_and_b32_e32 v11, 0xffff, v6
	v_add_nc_u32_e32 v6, s10, v3
	s_delay_alu instid0(VALU_DEP_2) | instskip(SKIP_1) | instid1(VALU_DEP_3)
	v_mul_lo_u32 v9, v11, s9
	v_mul_hi_u32 v14, v11, s8
	v_lshlrev_b64_e32 v[6:7], 3, v[6:7]
	v_mul_lo_u32 v8, v11, s8
	s_delay_alu instid0(VALU_DEP_2) | instskip(SKIP_2) | instid1(VALU_DEP_4)
	v_add_co_u32 v4, s2, v4, v6
	v_add_nc_u32_e32 v9, v9, v10
	s_wait_alu 0xf1ff
	v_add_co_ci_u32_e64 v5, null, v5, v7, s2
	s_delay_alu instid0(VALU_DEP_3) | instskip(NEXT) | instid1(VALU_DEP_3)
	v_add_co_u32 v4, s2, s6, v4
	v_add_nc_u32_e32 v9, v9, v14
	s_wait_alu 0xf1ff
	s_delay_alu instid0(VALU_DEP_3)
	v_add_co_ci_u32_e64 v5, null, s7, v5, s2
	s_mov_b32 s6, 0
	v_lshlrev_b64_e32 v[6:7], 3, v[8:9]
	v_dual_mov_b32 v9, v2 :: v_dual_mov_b32 v8, v1
	v_lshlrev_b32_e32 v13, 9, v11
.LBB8_2:                                ; =>This Inner Loop Header: Depth=1
	global_load_b64 v[14:15], v[4:5], off
	v_add_co_u32 v8, s2, v8, v11
	s_wait_alu 0xf1ff
	v_add_co_ci_u32_e64 v9, null, 0, v9, s2
	v_add_co_u32 v4, s2, v4, v6
	s_wait_alu 0xf1ff
	v_add_co_ci_u32_e64 v5, null, v5, v7, s2
	s_delay_alu instid0(VALU_DEP_3)
	v_cmp_lt_u64_e64 s3, 63, v[8:9]
	s_wait_alu 0xfffe
	s_or_b32 s6, s3, s6
	s_wait_loadcnt 0x0
	ds_store_b64 v12, v[14:15]
	v_add_nc_u32_e32 v12, v12, v13
	s_wait_alu 0xfffe
	s_and_not1_b32 exec_lo, exec_lo, s6
	s_cbranch_execnz .LBB8_2
.LBB8_3:
	s_or_b32 exec_lo, exec_lo, s11
	s_wait_dscnt 0x0
	s_barrier_signal -1
	s_barrier_wait -1
	global_inv scope:SCOPE_SE
	s_and_saveexec_b32 s3, vcc_lo
	s_cbranch_execz .LBB8_8
; %bb.4:
	v_dual_mov_b32 v4, 0 :: v_dual_lshlrev_b32 v9, 3, v1
	v_mul_u32_u24_e32 v6, 0x1f8, v3
	v_lshl_add_u32 v8, v1, 9, v0
	s_mov_b32 s6, 0
	global_load_u16 v5, v4, s[0:1] offset:38
	v_add3_u32 v9, v6, v0, v9
	s_wait_loadcnt 0x0
	v_dual_mov_b32 v6, v2 :: v_dual_and_b32 v7, 0xffff, v5
	s_delay_alu instid0(VALU_DEP_1)
	v_dual_mov_b32 v5, v1 :: v_dual_lshlrev_b32 v12, 3, v7
	v_lshlrev_b32_e32 v11, 9, v7
	s_branch .LBB8_6
.LBB8_5:                                ;   in Loop: Header=BB8_6 Depth=1
	s_wait_alu 0xfffe
	s_or_b32 exec_lo, exec_lo, s7
	v_add_co_u32 v5, s2, v5, v7
	s_wait_alu 0xf1ff
	v_add_co_ci_u32_e64 v6, null, 0, v6, s2
	v_add_nc_u32_e32 v8, v8, v11
	v_add_nc_u32_e32 v9, v9, v12
	s_delay_alu instid0(VALU_DEP_3)
	v_cmp_lt_u64_e64 s2, 63, v[5:6]
	s_or_b32 s6, s2, s6
	s_wait_alu 0xfffe
	s_and_not1_b32 exec_lo, exec_lo, s6
	s_cbranch_execz .LBB8_8
.LBB8_6:                                ; =>This Inner Loop Header: Depth=1
	s_mov_b32 s7, exec_lo
	s_delay_alu instid0(VALU_DEP_2)
	v_cmpx_lt_u64_e64 v[5:6], v[3:4]
	s_cbranch_execz .LBB8_5
; %bb.7:                                ;   in Loop: Header=BB8_6 Depth=1
	ds_load_b64 v[13:14], v9
	ds_load_b64 v[15:16], v8
	s_wait_dscnt 0x1
	ds_store_b64 v8, v[13:14]
	s_wait_dscnt 0x1
	ds_store_b64 v9, v[15:16]
	s_branch .LBB8_5
.LBB8_8:
	s_wait_alu 0xfffe
	s_or_b32 exec_lo, exec_lo, s3
	s_wait_loadcnt_dscnt 0x0
	s_barrier_signal -1
	s_barrier_wait -1
	global_inv scope:SCOPE_SE
	s_and_saveexec_b32 s2, vcc_lo
	s_cbranch_execz .LBB8_11
; %bb.9:
	v_mov_b32_e32 v4, 0
	v_lshl_add_u32 v3, ttmp7, 6, v3
	v_lshl_add_u32 v0, v1, 9, v0
	global_load_u16 v5, v4, s[0:1] offset:38
	v_add_co_u32 v6, s0, v1, s10
	s_wait_alu 0xf1ff
	v_add_co_ci_u32_e64 v7, null, 0, 0, s0
	s_mov_b32 s1, 0
	v_mul_lo_u32 v8, s9, v6
	v_mul_lo_u32 v9, s8, v7
	s_wait_loadcnt 0x0
	v_and_b32_e32 v7, 0xffff, v5
	v_mad_co_u64_u32 v[5:6], null, s8, v6, 0
	v_lshlrev_b64_e32 v[3:4], 3, v[3:4]
	s_delay_alu instid0(VALU_DEP_3) | instskip(NEXT) | instid1(VALU_DEP_3)
	v_mul_lo_u32 v11, v7, s9
	v_add3_u32 v6, v6, v9, v8
	v_mul_hi_u32 v8, v7, s8
	v_mul_lo_u32 v9, v7, s8
	s_delay_alu instid0(VALU_DEP_4) | instskip(NEXT) | instid1(VALU_DEP_4)
	v_add_nc_u32_e32 v10, v11, v10
	v_lshlrev_b64_e32 v[5:6], 3, v[5:6]
	s_delay_alu instid0(VALU_DEP_2) | instskip(SKIP_1) | instid1(VALU_DEP_3)
	v_add_nc_u32_e32 v10, v10, v8
	v_lshlrev_b32_e32 v8, 9, v7
	v_add_co_u32 v5, vcc_lo, v5, v3
	s_delay_alu instid0(VALU_DEP_1) | instskip(NEXT) | instid1(VALU_DEP_4)
	v_add_co_ci_u32_e64 v6, null, v6, v4, vcc_lo
	v_lshlrev_b64_e32 v[3:4], 3, v[9:10]
	s_delay_alu instid0(VALU_DEP_3) | instskip(SKIP_1) | instid1(VALU_DEP_3)
	v_add_co_u32 v5, vcc_lo, s4, v5
	s_wait_alu 0xfffd
	v_add_co_ci_u32_e64 v6, null, s5, v6, vcc_lo
.LBB8_10:                               ; =>This Inner Loop Header: Depth=1
	ds_load_b64 v[9:10], v0
	v_add_co_u32 v1, vcc_lo, v1, v7
	s_wait_alu 0xfffd
	v_add_co_ci_u32_e64 v2, null, 0, v2, vcc_lo
	v_add_nc_u32_e32 v0, v0, v8
	s_delay_alu instid0(VALU_DEP_2)
	v_cmp_lt_u64_e32 vcc_lo, 63, v[1:2]
	s_wait_alu 0xfffe
	s_or_b32 s1, vcc_lo, s1
	s_wait_dscnt 0x0
	global_store_b64 v[5:6], v[9:10], off
	v_add_co_u32 v5, s0, v5, v3
	s_wait_alu 0xf1ff
	v_add_co_ci_u32_e64 v6, null, v6, v4, s0
	s_wait_alu 0xfffe
	s_and_not1_b32 exec_lo, exec_lo, s1
	s_cbranch_execnz .LBB8_10
.LBB8_11:
	s_endpgm
	.section	.rodata,"a",@progbits
	.p2align	6, 0x0
	.amdhsa_kernel _Z23transposeLdsSwapInplaceIdEvPT_PKS0_m
		.amdhsa_group_segment_fixed_size 32768
		.amdhsa_private_segment_fixed_size 0
		.amdhsa_kernarg_size 280
		.amdhsa_user_sgpr_count 2
		.amdhsa_user_sgpr_dispatch_ptr 0
		.amdhsa_user_sgpr_queue_ptr 0
		.amdhsa_user_sgpr_kernarg_segment_ptr 1
		.amdhsa_user_sgpr_dispatch_id 0
		.amdhsa_user_sgpr_private_segment_size 0
		.amdhsa_wavefront_size32 1
		.amdhsa_uses_dynamic_stack 0
		.amdhsa_enable_private_segment 0
		.amdhsa_system_sgpr_workgroup_id_x 1
		.amdhsa_system_sgpr_workgroup_id_y 1
		.amdhsa_system_sgpr_workgroup_id_z 0
		.amdhsa_system_sgpr_workgroup_info 0
		.amdhsa_system_vgpr_workitem_id 1
		.amdhsa_next_free_vgpr 17
		.amdhsa_next_free_sgpr 12
		.amdhsa_reserve_vcc 1
		.amdhsa_float_round_mode_32 0
		.amdhsa_float_round_mode_16_64 0
		.amdhsa_float_denorm_mode_32 3
		.amdhsa_float_denorm_mode_16_64 3
		.amdhsa_fp16_overflow 0
		.amdhsa_workgroup_processor_mode 1
		.amdhsa_memory_ordered 1
		.amdhsa_forward_progress 1
		.amdhsa_inst_pref_size 8
		.amdhsa_round_robin_scheduling 0
		.amdhsa_exception_fp_ieee_invalid_op 0
		.amdhsa_exception_fp_denorm_src 0
		.amdhsa_exception_fp_ieee_div_zero 0
		.amdhsa_exception_fp_ieee_overflow 0
		.amdhsa_exception_fp_ieee_underflow 0
		.amdhsa_exception_fp_ieee_inexact 0
		.amdhsa_exception_int_div_zero 0
	.end_amdhsa_kernel
	.section	.text._Z23transposeLdsSwapInplaceIdEvPT_PKS0_m,"axG",@progbits,_Z23transposeLdsSwapInplaceIdEvPT_PKS0_m,comdat
.Lfunc_end8:
	.size	_Z23transposeLdsSwapInplaceIdEvPT_PKS0_m, .Lfunc_end8-_Z23transposeLdsSwapInplaceIdEvPT_PKS0_m
                                        ; -- End function
	.set _Z23transposeLdsSwapInplaceIdEvPT_PKS0_m.num_vgpr, 17
	.set _Z23transposeLdsSwapInplaceIdEvPT_PKS0_m.num_agpr, 0
	.set _Z23transposeLdsSwapInplaceIdEvPT_PKS0_m.numbered_sgpr, 12
	.set _Z23transposeLdsSwapInplaceIdEvPT_PKS0_m.num_named_barrier, 0
	.set _Z23transposeLdsSwapInplaceIdEvPT_PKS0_m.private_seg_size, 0
	.set _Z23transposeLdsSwapInplaceIdEvPT_PKS0_m.uses_vcc, 1
	.set _Z23transposeLdsSwapInplaceIdEvPT_PKS0_m.uses_flat_scratch, 0
	.set _Z23transposeLdsSwapInplaceIdEvPT_PKS0_m.has_dyn_sized_stack, 0
	.set _Z23transposeLdsSwapInplaceIdEvPT_PKS0_m.has_recursion, 0
	.set _Z23transposeLdsSwapInplaceIdEvPT_PKS0_m.has_indirect_call, 0
	.section	.AMDGPU.csdata,"",@progbits
; Kernel info:
; codeLenInByte = 988
; TotalNumSgprs: 14
; NumVgprs: 17
; ScratchSize: 0
; MemoryBound: 0
; FloatMode: 240
; IeeeMode: 1
; LDSByteSize: 32768 bytes/workgroup (compile time only)
; SGPRBlocks: 0
; VGPRBlocks: 2
; NumSGPRsForWavesPerEU: 14
; NumVGPRsForWavesPerEU: 17
; Occupancy: 16
; WaveLimiterHint : 0
; COMPUTE_PGM_RSRC2:SCRATCH_EN: 0
; COMPUTE_PGM_RSRC2:USER_SGPR: 2
; COMPUTE_PGM_RSRC2:TRAP_HANDLER: 0
; COMPUTE_PGM_RSRC2:TGID_X_EN: 1
; COMPUTE_PGM_RSRC2:TGID_Y_EN: 1
; COMPUTE_PGM_RSRC2:TGID_Z_EN: 0
; COMPUTE_PGM_RSRC2:TIDIG_COMP_CNT: 1
	.section	.AMDGPU.gpr_maximums,"",@progbits
	.set amdgpu.max_num_vgpr, 0
	.set amdgpu.max_num_agpr, 0
	.set amdgpu.max_num_sgpr, 0
	.section	.AMDGPU.csdata,"",@progbits
	.type	__hip_cuid_1727385eb83507fa,@object ; @__hip_cuid_1727385eb83507fa
	.section	.bss,"aw",@nobits
	.globl	__hip_cuid_1727385eb83507fa
__hip_cuid_1727385eb83507fa:
	.byte	0                               ; 0x0
	.size	__hip_cuid_1727385eb83507fa, 1

	.ident	"AMD clang version 22.0.0git (https://github.com/RadeonOpenCompute/llvm-project roc-7.2.4 26084 f58b06dce1f9c15707c5f808fd002e18c2accf7e)"
	.section	".note.GNU-stack","",@progbits
	.addrsig
	.addrsig_sym __hip_cuid_1727385eb83507fa
	.amdgpu_metadata
---
amdhsa.kernels:
  - .args:
      - .address_space:  global
        .offset:         0
        .size:           8
        .value_kind:     global_buffer
      - .address_space:  global
        .offset:         8
        .size:           8
        .value_kind:     global_buffer
      - .offset:         16
        .size:           8
        .value_kind:     by_value
      - .offset:         24
        .size:           4
        .value_kind:     hidden_block_count_x
      - .offset:         28
        .size:           4
        .value_kind:     hidden_block_count_y
      - .offset:         32
        .size:           4
        .value_kind:     hidden_block_count_z
      - .offset:         36
        .size:           2
        .value_kind:     hidden_group_size_x
      - .offset:         38
        .size:           2
        .value_kind:     hidden_group_size_y
      - .offset:         40
        .size:           2
        .value_kind:     hidden_group_size_z
      - .offset:         42
        .size:           2
        .value_kind:     hidden_remainder_x
      - .offset:         44
        .size:           2
        .value_kind:     hidden_remainder_y
      - .offset:         46
        .size:           2
        .value_kind:     hidden_remainder_z
      - .offset:         64
        .size:           8
        .value_kind:     hidden_global_offset_x
      - .offset:         72
        .size:           8
        .value_kind:     hidden_global_offset_y
      - .offset:         80
        .size:           8
        .value_kind:     hidden_global_offset_z
      - .offset:         88
        .size:           2
        .value_kind:     hidden_grid_dims
    .group_segment_fixed_size: 0
    .kernarg_segment_align: 8
    .kernarg_segment_size: 280
    .language:       OpenCL C
    .language_version:
      - 2
      - 0
    .max_flat_workgroup_size: 1024
    .name:           _Z14transposeNaiveIiEvPT_PKS0_m
    .private_segment_fixed_size: 0
    .sgpr_count:     12
    .sgpr_spill_count: 0
    .symbol:         _Z14transposeNaiveIiEvPT_PKS0_m.kd
    .uniform_work_group_size: 1
    .uses_dynamic_stack: false
    .vgpr_count:     15
    .vgpr_spill_count: 0
    .wavefront_size: 32
    .workgroup_processor_mode: 1
  - .args:
      - .address_space:  global
        .offset:         0
        .size:           8
        .value_kind:     global_buffer
      - .address_space:  global
        .offset:         8
        .size:           8
        .value_kind:     global_buffer
      - .offset:         16
        .size:           8
        .value_kind:     by_value
      - .offset:         24
        .size:           4
        .value_kind:     hidden_block_count_x
      - .offset:         28
        .size:           4
        .value_kind:     hidden_block_count_y
      - .offset:         32
        .size:           4
        .value_kind:     hidden_block_count_z
      - .offset:         36
        .size:           2
        .value_kind:     hidden_group_size_x
      - .offset:         38
        .size:           2
        .value_kind:     hidden_group_size_y
      - .offset:         40
        .size:           2
        .value_kind:     hidden_group_size_z
      - .offset:         42
        .size:           2
        .value_kind:     hidden_remainder_x
      - .offset:         44
        .size:           2
        .value_kind:     hidden_remainder_y
      - .offset:         46
        .size:           2
        .value_kind:     hidden_remainder_z
      - .offset:         64
        .size:           8
        .value_kind:     hidden_global_offset_x
      - .offset:         72
        .size:           8
        .value_kind:     hidden_global_offset_y
      - .offset:         80
        .size:           8
        .value_kind:     hidden_global_offset_z
      - .offset:         88
        .size:           2
        .value_kind:     hidden_grid_dims
    .group_segment_fixed_size: 16640
    .kernarg_segment_align: 8
    .kernarg_segment_size: 280
    .language:       OpenCL C
    .language_version:
      - 2
      - 0
    .max_flat_workgroup_size: 1024
    .name:           _Z27transposeLdsNoBankConflictsIiEvPT_PKS0_m
    .private_segment_fixed_size: 0
    .sgpr_count:     15
    .sgpr_spill_count: 0
    .symbol:         _Z27transposeLdsNoBankConflictsIiEvPT_PKS0_m.kd
    .uniform_work_group_size: 1
    .uses_dynamic_stack: false
    .vgpr_count:     9
    .vgpr_spill_count: 0
    .wavefront_size: 32
    .workgroup_processor_mode: 1
  - .args:
      - .address_space:  global
        .offset:         0
        .size:           8
        .value_kind:     global_buffer
      - .address_space:  global
        .offset:         8
        .size:           8
        .value_kind:     global_buffer
      - .offset:         16
        .size:           8
        .value_kind:     by_value
      - .offset:         24
        .size:           4
        .value_kind:     hidden_block_count_x
      - .offset:         28
        .size:           4
        .value_kind:     hidden_block_count_y
      - .offset:         32
        .size:           4
        .value_kind:     hidden_block_count_z
      - .offset:         36
        .size:           2
        .value_kind:     hidden_group_size_x
      - .offset:         38
        .size:           2
        .value_kind:     hidden_group_size_y
      - .offset:         40
        .size:           2
        .value_kind:     hidden_group_size_z
      - .offset:         42
        .size:           2
        .value_kind:     hidden_remainder_x
      - .offset:         44
        .size:           2
        .value_kind:     hidden_remainder_y
      - .offset:         46
        .size:           2
        .value_kind:     hidden_remainder_z
      - .offset:         64
        .size:           8
        .value_kind:     hidden_global_offset_x
      - .offset:         72
        .size:           8
        .value_kind:     hidden_global_offset_y
      - .offset:         80
        .size:           8
        .value_kind:     hidden_global_offset_z
      - .offset:         88
        .size:           2
        .value_kind:     hidden_grid_dims
    .group_segment_fixed_size: 16384
    .kernarg_segment_align: 8
    .kernarg_segment_size: 280
    .language:       OpenCL C
    .language_version:
      - 2
      - 0
    .max_flat_workgroup_size: 1024
    .name:           _Z23transposeLdsSwapInplaceIiEvPT_PKS0_m
    .private_segment_fixed_size: 0
    .sgpr_count:     14
    .sgpr_spill_count: 0
    .symbol:         _Z23transposeLdsSwapInplaceIiEvPT_PKS0_m.kd
    .uniform_work_group_size: 1
    .uses_dynamic_stack: false
    .vgpr_count:     15
    .vgpr_spill_count: 0
    .wavefront_size: 32
    .workgroup_processor_mode: 1
  - .args:
      - .address_space:  global
        .offset:         0
        .size:           8
        .value_kind:     global_buffer
      - .address_space:  global
        .offset:         8
        .size:           8
        .value_kind:     global_buffer
      - .offset:         16
        .size:           8
        .value_kind:     by_value
      - .offset:         24
        .size:           4
        .value_kind:     hidden_block_count_x
      - .offset:         28
        .size:           4
        .value_kind:     hidden_block_count_y
      - .offset:         32
        .size:           4
        .value_kind:     hidden_block_count_z
      - .offset:         36
        .size:           2
        .value_kind:     hidden_group_size_x
      - .offset:         38
        .size:           2
        .value_kind:     hidden_group_size_y
      - .offset:         40
        .size:           2
        .value_kind:     hidden_group_size_z
      - .offset:         42
        .size:           2
        .value_kind:     hidden_remainder_x
      - .offset:         44
        .size:           2
        .value_kind:     hidden_remainder_y
      - .offset:         46
        .size:           2
        .value_kind:     hidden_remainder_z
      - .offset:         64
        .size:           8
        .value_kind:     hidden_global_offset_x
      - .offset:         72
        .size:           8
        .value_kind:     hidden_global_offset_y
      - .offset:         80
        .size:           8
        .value_kind:     hidden_global_offset_z
      - .offset:         88
        .size:           2
        .value_kind:     hidden_grid_dims
    .group_segment_fixed_size: 0
    .kernarg_segment_align: 8
    .kernarg_segment_size: 280
    .language:       OpenCL C
    .language_version:
      - 2
      - 0
    .max_flat_workgroup_size: 1024
    .name:           _Z14transposeNaiveIfEvPT_PKS0_m
    .private_segment_fixed_size: 0
    .sgpr_count:     12
    .sgpr_spill_count: 0
    .symbol:         _Z14transposeNaiveIfEvPT_PKS0_m.kd
    .uniform_work_group_size: 1
    .uses_dynamic_stack: false
    .vgpr_count:     15
    .vgpr_spill_count: 0
    .wavefront_size: 32
    .workgroup_processor_mode: 1
  - .args:
      - .address_space:  global
        .offset:         0
        .size:           8
        .value_kind:     global_buffer
      - .address_space:  global
        .offset:         8
        .size:           8
        .value_kind:     global_buffer
      - .offset:         16
        .size:           8
        .value_kind:     by_value
      - .offset:         24
        .size:           4
        .value_kind:     hidden_block_count_x
      - .offset:         28
        .size:           4
        .value_kind:     hidden_block_count_y
      - .offset:         32
        .size:           4
        .value_kind:     hidden_block_count_z
      - .offset:         36
        .size:           2
        .value_kind:     hidden_group_size_x
      - .offset:         38
        .size:           2
        .value_kind:     hidden_group_size_y
      - .offset:         40
        .size:           2
        .value_kind:     hidden_group_size_z
      - .offset:         42
        .size:           2
        .value_kind:     hidden_remainder_x
      - .offset:         44
        .size:           2
        .value_kind:     hidden_remainder_y
      - .offset:         46
        .size:           2
        .value_kind:     hidden_remainder_z
      - .offset:         64
        .size:           8
        .value_kind:     hidden_global_offset_x
      - .offset:         72
        .size:           8
        .value_kind:     hidden_global_offset_y
      - .offset:         80
        .size:           8
        .value_kind:     hidden_global_offset_z
      - .offset:         88
        .size:           2
        .value_kind:     hidden_grid_dims
    .group_segment_fixed_size: 16640
    .kernarg_segment_align: 8
    .kernarg_segment_size: 280
    .language:       OpenCL C
    .language_version:
      - 2
      - 0
    .max_flat_workgroup_size: 1024
    .name:           _Z27transposeLdsNoBankConflictsIfEvPT_PKS0_m
    .private_segment_fixed_size: 0
    .sgpr_count:     15
    .sgpr_spill_count: 0
    .symbol:         _Z27transposeLdsNoBankConflictsIfEvPT_PKS0_m.kd
    .uniform_work_group_size: 1
    .uses_dynamic_stack: false
    .vgpr_count:     9
    .vgpr_spill_count: 0
    .wavefront_size: 32
    .workgroup_processor_mode: 1
  - .args:
      - .address_space:  global
        .offset:         0
        .size:           8
        .value_kind:     global_buffer
      - .address_space:  global
        .offset:         8
        .size:           8
        .value_kind:     global_buffer
      - .offset:         16
        .size:           8
        .value_kind:     by_value
      - .offset:         24
        .size:           4
        .value_kind:     hidden_block_count_x
      - .offset:         28
        .size:           4
        .value_kind:     hidden_block_count_y
      - .offset:         32
        .size:           4
        .value_kind:     hidden_block_count_z
      - .offset:         36
        .size:           2
        .value_kind:     hidden_group_size_x
      - .offset:         38
        .size:           2
        .value_kind:     hidden_group_size_y
      - .offset:         40
        .size:           2
        .value_kind:     hidden_group_size_z
      - .offset:         42
        .size:           2
        .value_kind:     hidden_remainder_x
      - .offset:         44
        .size:           2
        .value_kind:     hidden_remainder_y
      - .offset:         46
        .size:           2
        .value_kind:     hidden_remainder_z
      - .offset:         64
        .size:           8
        .value_kind:     hidden_global_offset_x
      - .offset:         72
        .size:           8
        .value_kind:     hidden_global_offset_y
      - .offset:         80
        .size:           8
        .value_kind:     hidden_global_offset_z
      - .offset:         88
        .size:           2
        .value_kind:     hidden_grid_dims
    .group_segment_fixed_size: 16384
    .kernarg_segment_align: 8
    .kernarg_segment_size: 280
    .language:       OpenCL C
    .language_version:
      - 2
      - 0
    .max_flat_workgroup_size: 1024
    .name:           _Z23transposeLdsSwapInplaceIfEvPT_PKS0_m
    .private_segment_fixed_size: 0
    .sgpr_count:     14
    .sgpr_spill_count: 0
    .symbol:         _Z23transposeLdsSwapInplaceIfEvPT_PKS0_m.kd
    .uniform_work_group_size: 1
    .uses_dynamic_stack: false
    .vgpr_count:     15
    .vgpr_spill_count: 0
    .wavefront_size: 32
    .workgroup_processor_mode: 1
  - .args:
      - .address_space:  global
        .offset:         0
        .size:           8
        .value_kind:     global_buffer
      - .address_space:  global
        .offset:         8
        .size:           8
        .value_kind:     global_buffer
      - .offset:         16
        .size:           8
        .value_kind:     by_value
      - .offset:         24
        .size:           4
        .value_kind:     hidden_block_count_x
      - .offset:         28
        .size:           4
        .value_kind:     hidden_block_count_y
      - .offset:         32
        .size:           4
        .value_kind:     hidden_block_count_z
      - .offset:         36
        .size:           2
        .value_kind:     hidden_group_size_x
      - .offset:         38
        .size:           2
        .value_kind:     hidden_group_size_y
      - .offset:         40
        .size:           2
        .value_kind:     hidden_group_size_z
      - .offset:         42
        .size:           2
        .value_kind:     hidden_remainder_x
      - .offset:         44
        .size:           2
        .value_kind:     hidden_remainder_y
      - .offset:         46
        .size:           2
        .value_kind:     hidden_remainder_z
      - .offset:         64
        .size:           8
        .value_kind:     hidden_global_offset_x
      - .offset:         72
        .size:           8
        .value_kind:     hidden_global_offset_y
      - .offset:         80
        .size:           8
        .value_kind:     hidden_global_offset_z
      - .offset:         88
        .size:           2
        .value_kind:     hidden_grid_dims
    .group_segment_fixed_size: 0
    .kernarg_segment_align: 8
    .kernarg_segment_size: 280
    .language:       OpenCL C
    .language_version:
      - 2
      - 0
    .max_flat_workgroup_size: 1024
    .name:           _Z14transposeNaiveIdEvPT_PKS0_m
    .private_segment_fixed_size: 0
    .sgpr_count:     12
    .sgpr_spill_count: 0
    .symbol:         _Z14transposeNaiveIdEvPT_PKS0_m.kd
    .uniform_work_group_size: 1
    .uses_dynamic_stack: false
    .vgpr_count:     15
    .vgpr_spill_count: 0
    .wavefront_size: 32
    .workgroup_processor_mode: 1
  - .args:
      - .address_space:  global
        .offset:         0
        .size:           8
        .value_kind:     global_buffer
      - .address_space:  global
        .offset:         8
        .size:           8
        .value_kind:     global_buffer
      - .offset:         16
        .size:           8
        .value_kind:     by_value
      - .offset:         24
        .size:           4
        .value_kind:     hidden_block_count_x
      - .offset:         28
        .size:           4
        .value_kind:     hidden_block_count_y
      - .offset:         32
        .size:           4
        .value_kind:     hidden_block_count_z
      - .offset:         36
        .size:           2
        .value_kind:     hidden_group_size_x
      - .offset:         38
        .size:           2
        .value_kind:     hidden_group_size_y
      - .offset:         40
        .size:           2
        .value_kind:     hidden_group_size_z
      - .offset:         42
        .size:           2
        .value_kind:     hidden_remainder_x
      - .offset:         44
        .size:           2
        .value_kind:     hidden_remainder_y
      - .offset:         46
        .size:           2
        .value_kind:     hidden_remainder_z
      - .offset:         64
        .size:           8
        .value_kind:     hidden_global_offset_x
      - .offset:         72
        .size:           8
        .value_kind:     hidden_global_offset_y
      - .offset:         80
        .size:           8
        .value_kind:     hidden_global_offset_z
      - .offset:         88
        .size:           2
        .value_kind:     hidden_grid_dims
    .group_segment_fixed_size: 33280
    .kernarg_segment_align: 8
    .kernarg_segment_size: 280
    .language:       OpenCL C
    .language_version:
      - 2
      - 0
    .max_flat_workgroup_size: 1024
    .name:           _Z27transposeLdsNoBankConflictsIdEvPT_PKS0_m
    .private_segment_fixed_size: 0
    .sgpr_count:     15
    .sgpr_spill_count: 0
    .symbol:         _Z27transposeLdsNoBankConflictsIdEvPT_PKS0_m.kd
    .uniform_work_group_size: 1
    .uses_dynamic_stack: false
    .vgpr_count:     9
    .vgpr_spill_count: 0
    .wavefront_size: 32
    .workgroup_processor_mode: 1
  - .args:
      - .address_space:  global
        .offset:         0
        .size:           8
        .value_kind:     global_buffer
      - .address_space:  global
        .offset:         8
        .size:           8
        .value_kind:     global_buffer
      - .offset:         16
        .size:           8
        .value_kind:     by_value
      - .offset:         24
        .size:           4
        .value_kind:     hidden_block_count_x
      - .offset:         28
        .size:           4
        .value_kind:     hidden_block_count_y
      - .offset:         32
        .size:           4
        .value_kind:     hidden_block_count_z
      - .offset:         36
        .size:           2
        .value_kind:     hidden_group_size_x
      - .offset:         38
        .size:           2
        .value_kind:     hidden_group_size_y
      - .offset:         40
        .size:           2
        .value_kind:     hidden_group_size_z
      - .offset:         42
        .size:           2
        .value_kind:     hidden_remainder_x
      - .offset:         44
        .size:           2
        .value_kind:     hidden_remainder_y
      - .offset:         46
        .size:           2
        .value_kind:     hidden_remainder_z
      - .offset:         64
        .size:           8
        .value_kind:     hidden_global_offset_x
      - .offset:         72
        .size:           8
        .value_kind:     hidden_global_offset_y
      - .offset:         80
        .size:           8
        .value_kind:     hidden_global_offset_z
      - .offset:         88
        .size:           2
        .value_kind:     hidden_grid_dims
    .group_segment_fixed_size: 32768
    .kernarg_segment_align: 8
    .kernarg_segment_size: 280
    .language:       OpenCL C
    .language_version:
      - 2
      - 0
    .max_flat_workgroup_size: 1024
    .name:           _Z23transposeLdsSwapInplaceIdEvPT_PKS0_m
    .private_segment_fixed_size: 0
    .sgpr_count:     14
    .sgpr_spill_count: 0
    .symbol:         _Z23transposeLdsSwapInplaceIdEvPT_PKS0_m.kd
    .uniform_work_group_size: 1
    .uses_dynamic_stack: false
    .vgpr_count:     17
    .vgpr_spill_count: 0
    .wavefront_size: 32
    .workgroup_processor_mode: 1
amdhsa.target:   amdgcn-amd-amdhsa--gfx1201
amdhsa.version:
  - 1
  - 2
...

	.end_amdgpu_metadata
